;; amdgpu-corpus repo=pytorch/pytorch kind=compiled arch=gfx1250 opt=O3
	.amdgcn_target "amdgcn-amd-amdhsa--gfx1250"
	.amdhsa_code_object_version 6
	.section	.text._ZN2at6native12_GLOBAL__N_126adaptive_average_pool_nhwcIidEEvPKT0_PS3_iiiiiiiiT_S7_S7_S7_,"axG",@progbits,_ZN2at6native12_GLOBAL__N_126adaptive_average_pool_nhwcIidEEvPKT0_PS3_iiiiiiiiT_S7_S7_S7_,comdat
	.globl	_ZN2at6native12_GLOBAL__N_126adaptive_average_pool_nhwcIidEEvPKT0_PS3_iiiiiiiiT_S7_S7_S7_ ; -- Begin function _ZN2at6native12_GLOBAL__N_126adaptive_average_pool_nhwcIidEEvPKT0_PS3_iiiiiiiiT_S7_S7_S7_
	.p2align	8
	.type	_ZN2at6native12_GLOBAL__N_126adaptive_average_pool_nhwcIidEEvPKT0_PS3_iiiiiiiiT_S7_S7_S7_,@function
_ZN2at6native12_GLOBAL__N_126adaptive_average_pool_nhwcIidEEvPKT0_PS3_iiiiiiiiT_S7_S7_S7_: ; @_ZN2at6native12_GLOBAL__N_126adaptive_average_pool_nhwcIidEEvPKT0_PS3_iiiiiiiiT_S7_S7_S7_
; %bb.0:
	s_clause 0x1
	s_load_b128 s[16:19], s[0:1], 0x44
	s_load_b256 s[4:11], s[0:1], 0x10
	v_bfe_u32 v3, v0, 10, 10
	v_bfe_u32 v5, v0, 20, 10
	s_load_b128 s[12:15], s[0:1], 0x30
	v_and_b32_e32 v2, 0x3ff, v0
	s_mov_b32 s3, exec_lo
	s_wait_kmcnt 0x0
	s_lshr_b32 s22, s18, 16
	s_and_b32 s28, s18, 0xffff
	v_mad_u32_u24 v4, v5, s22, v3
	s_mul_i32 s2, s11, s28
	s_and_b32 s23, s19, 0xffff
	s_mul_i32 s2, s2, s22
	s_delay_alu instid0(SALU_CYCLE_1) | instskip(SKIP_1) | instid1(VALU_DEP_1)
	s_mul_i32 s2, s2, s23
	v_mad_u32 v6, v4, s28, v2
	v_cmpx_gt_u32_e64 s2, v6
	s_cbranch_execz .LBB0_3
; %bb.1:
	v_mov_b64_e32 v[0:1], 0
	s_mul_i32 s18, s22, s28
	v_lshl_add_u32 v7, v6, 3, 0
	s_mul_i32 s18, s18, s23
	s_mov_b32 s19, 0
	s_lshl_b32 s20, s18, 3
.LBB0_2:                                ; =>This Inner Loop Header: Depth=1
	v_add_nc_u32_e32 v6, s18, v6
	ds_store_b64 v7, v[0:1]
	v_add_nc_u32_e32 v7, s20, v7
	v_cmp_le_u32_e32 vcc_lo, s2, v6
	s_or_b32 s19, vcc_lo, s19
	s_delay_alu instid0(SALU_CYCLE_1)
	s_and_not1_b32 exec_lo, exec_lo, s19
	s_cbranch_execnz .LBB0_2
.LBB0_3:
	s_or_b32 exec_lo, exec_lo, s3
	s_cvt_f32_u32 s18, s17
	s_sub_co_i32 s19, 0, s17
	s_add_co_i32 s20, s8, -1
	s_load_b128 s[0:3], s[0:1], 0x0
	v_rcp_iflag_f32_e32 v0, s18
	s_add_co_i32 s21, s20, s17
	s_wait_dscnt 0x0
	s_barrier_signal -1
	s_barrier_wait -1
	v_nop
	s_delay_alu instid0(TRANS32_DEP_1) | instskip(SKIP_1) | instid1(SALU_CYCLE_3)
	v_readfirstlane_b32 s18, v0
	s_mul_f32 s18, s18, 0x4f7ffffe
	s_cvt_u32_f32 s18, s18
	s_delay_alu instid0(SALU_CYCLE_3) | instskip(NEXT) | instid1(SALU_CYCLE_1)
	s_mul_i32 s19, s19, s18
	s_mul_hi_u32 s19, s18, s19
	s_delay_alu instid0(SALU_CYCLE_1) | instskip(NEXT) | instid1(SALU_CYCLE_1)
	s_add_co_i32 s18, s18, s19
	s_mul_hi_u32 s18, s21, s18
	s_delay_alu instid0(SALU_CYCLE_1) | instskip(NEXT) | instid1(SALU_CYCLE_1)
	s_mul_i32 s19, s18, s17
	s_sub_co_i32 s19, s21, s19
	s_add_co_i32 s21, s18, 1
	s_sub_co_i32 s24, s19, s17
	s_cmp_ge_u32 s19, s17
	s_cselect_b32 s18, s21, s18
	s_cselect_b32 s19, s24, s19
	s_add_co_i32 s21, s18, 1
	s_cmp_ge_u32 s19, s17
	s_getreg_b32 s17, hwreg(HW_REG_IB_STS2, 6, 4)
	s_cselect_b32 s18, s21, s18
	s_bfe_u32 s21, ttmp6, 0x40014
	s_bfe_u32 s26, ttmp6, 0x40010
	;; [unrolled: 1-line block ×3, first 2 shown]
	s_lshr_b32 s19, ttmp7, 16
	s_and_b32 s25, ttmp7, 0xffff
	s_add_co_i32 s21, s21, 1
	s_add_co_i32 s26, s26, 1
	;; [unrolled: 1-line block ×3, first 2 shown]
	s_bfe_u32 s24, ttmp6, 0x40008
	s_bfe_u32 s27, ttmp6, 0x40004
	s_and_b32 s29, ttmp6, 15
	s_mul_i32 s21, s19, s21
	s_mul_i32 s26, s25, s26
	s_mul_i32 s30, ttmp9, s30
	s_add_co_i32 s24, s24, s21
	s_add_co_i32 s27, s27, s26
	;; [unrolled: 1-line block ×3, first 2 shown]
	s_cmp_eq_u32 s17, 0
	s_cselect_b32 s17, s19, s24
	s_cvt_f32_u32 s19, s4
	v_mad_u32 v10, s18, s17, v5
	s_cvt_f32_u32 s17, s16
	s_delay_alu instid0(SALU_CYCLE_1) | instskip(SKIP_1) | instid1(SALU_CYCLE_1)
	v_rcp_iflag_f32_e32 v0, s19
	s_mov_b32 s19, 0
	v_rcp_iflag_f32_e32 v1, s17
	s_cselect_b32 s17, s25, s27
	s_mov_b32 s25, exec_lo
	s_delay_alu instid0(TRANS32_DEP_2) | instskip(NEXT) | instid1(VALU_DEP_2)
	v_readfirstlane_b32 s24, v0
	v_add_min_i32_e64 v11, v10, s18, s8
	s_delay_alu instid0(TRANS32_DEP_1)
	v_readfirstlane_b32 s21, v1
	s_cselect_b32 s18, ttmp9, s29
	v_cmpx_lt_i32_e64 v10, v11
	s_cbranch_execz .LBB0_21
; %bb.4:
	s_mul_f32 s24, s24, 0x4f7ffffe
	s_sub_co_i32 s26, 0, s4
	s_mul_f32 s21, s21, 0x4f7ffffe
	s_sub_co_i32 s30, 0, s16
	s_cvt_u32_f32 s24, s24
	s_mov_b32 s25, s19
	s_cvt_u32_f32 s21, s21
	s_add_co_i32 s29, s9, -1
	s_mul_i32 s26, s26, s24
	s_mov_b32 s27, s19
	s_mul_hi_u32 s31, s24, s26
	s_mul_i32 s30, s30, s21
	s_add_co_i32 s24, s24, s31
	s_add_co_i32 s26, s29, s16
	s_mul_u64 s[24:25], s[18:19], s[24:25]
	s_mul_hi_u32 s24, s21, s30
	s_mul_i32 s31, s25, s4
	s_add_co_i32 s30, s21, s24
	s_sub_co_i32 s21, s18, s31
	s_add_co_i32 s24, s25, 1
	s_sub_co_i32 s33, s21, s4
	s_cmp_ge_u32 s21, s4
	s_mov_b32 s31, s19
	s_cselect_b32 s24, s24, s25
	s_cselect_b32 s21, s33, s21
	s_add_co_i32 s25, s24, 1
	s_cmp_ge_u32 s21, s4
	s_mul_i32 s21, s8, s5
	s_cselect_b32 s33, s25, s24
	s_mul_i32 s21, s21, s9
	s_mul_i32 s4, s33, s4
	s_mul_u64 s[24:25], s[26:27], s[30:31]
	s_sub_co_i32 s4, s18, s4
	s_mul_i32 s18, s25, s16
	s_mul_i32 s30, s21, s4
	;; [unrolled: 1-line block ×3, first 2 shown]
	s_ashr_i32 s31, s30, 31
	s_ashr_i32 s35, s34, 31
	s_sub_co_i32 s4, s26, s18
	s_lshl_b64 s[30:31], s[30:31], 3
	s_lshl_b64 s[34:35], s[34:35], 3
	s_add_co_i32 s12, s25, 1
	s_sub_co_i32 s18, s4, s16
	s_cmp_ge_u32 s4, s16
	v_mul_lo_u32 v0, s11, v4
	s_cselect_b32 s12, s12, s25
	s_cselect_b32 s4, s18, s4
	s_add_co_i32 s18, s12, 1
	s_cmp_ge_u32 s4, s16
	v_mad_u32 v12, s33, s28, v2
	s_cselect_b32 s18, s18, s12
	s_abs_i32 s4, s8
	s_abs_i32 s12, s9
	s_cvt_f32_u32 s16, s4
	s_cvt_f32_u32 s11, s12
	v_mad_u32 v13, s18, s17, v3
	v_mul_lo_u32 v0, v0, s28
	v_rcp_iflag_f32_e32 v1, s16
	v_rcp_iflag_f32_e32 v4, s11
	s_wait_kmcnt 0x0
	s_add_nc_u64 s[16:17], s[0:1], s[34:35]
	s_mul_i32 s24, s10, s28
	s_add_nc_u64 s[10:11], s[2:3], s[30:31]
	v_mul_lo_u32 v15, s13, v12
	s_sub_co_i32 s3, 0, s4
	v_readfirstlane_b32 s21, v1
	v_readfirstlane_b32 s1, v4
	v_add_min_i32_e64 v14, v13, s18, s9
	v_dual_lshlrev_b32 v3, 3, v0 :: v_dual_lshlrev_b32 v2, 3, v2
	s_mul_f32 s2, s21, 0x4f7ffffe
	s_mul_f32 s1, s1, 0x4f7ffffe
	s_sub_co_i32 s21, 0, s12
	v_mov_b64_e32 v[0:1], 0
	s_cvt_u32_f32 s2, s2
	s_cvt_u32_f32 s27, s1
	v_cmp_gt_i32_e64 s0, s5, v12
	v_cmp_lt_i32_e64 s1, v13, v14
	s_mul_i32 s3, s3, s2
	s_mul_i32 s21, s21, s27
	s_mul_hi_u32 s3, s2, s3
	v_add3_u32 v16, v3, v2, 0
	v_mov_b32_e32 v3, 0
	s_add_co_i32 s18, s2, s3
	s_mul_hi_u32 s2, s27, s21
	s_ashr_i32 s8, s8, 31
	s_add_co_i32 s25, s6, s20
	s_ashr_i32 s26, s9, 31
	s_add_co_i32 s20, s27, s2
	s_mov_b32 s21, s19
	s_add_co_i32 s27, s7, s29
	s_mul_i32 s13, s24, s13
	s_lshl_b32 s28, s28, 3
	s_mov_b32 s29, s19
	s_branch .LBB0_6
.LBB0_5:                                ;   in Loop: Header=BB0_6 Depth=1
	s_or_b32 exec_lo, exec_lo, s30
	v_add_nc_u32_e32 v10, s23, v10
	s_delay_alu instid0(VALU_DEP_1) | instskip(SKIP_1) | instid1(SALU_CYCLE_1)
	v_cmp_ge_i32_e32 vcc_lo, v10, v11
	s_or_b32 s29, vcc_lo, s29
	s_and_not1_b32 exec_lo, exec_lo, s29
	s_cbranch_execz .LBB0_21
.LBB0_6:                                ; =>This Loop Header: Depth=1
                                        ;     Child Loop BB0_9 Depth 2
                                        ;       Child Loop BB0_12 Depth 3
                                        ;         Child Loop BB0_15 Depth 4
                                        ;           Child Loop BB0_17 Depth 5
                                        ;       Child Loop BB0_20 Depth 3
	s_and_saveexec_b32 s30, s1
	s_cbranch_execz .LBB0_5
; %bb.7:                                ;   in Loop: Header=BB0_6 Depth=1
	v_mul_lo_u32 v8, v10, s6
	v_mul_lo_u32 v19, v10, s9
	s_mov_b32 s31, 0
	s_delay_alu instid0(VALU_DEP_2) | instskip(NEXT) | instid1(VALU_DEP_1)
	v_dual_mov_b32 v21, v13 :: v_dual_sub_nc_u32 v2, 0, v8
	v_dual_add_nc_u32 v9, s25, v8 :: v_dual_max_i32 v2, v8, v2
	s_delay_alu instid0(VALU_DEP_1) | instskip(NEXT) | instid1(VALU_DEP_2)
	v_sub_nc_u32_e32 v6, 0, v9
	v_mul_u64_e32 v[4:5], s[18:19], v[2:3]
	s_delay_alu instid0(VALU_DEP_1) | instskip(SKIP_1) | instid1(VALU_DEP_1)
	v_dual_ashrrev_i32 v8, 31, v8 :: v_dual_add_nc_u32 v17, 1, v5
	v_mul_lo_u32 v4, v5, s4
	v_dual_sub_nc_u32 v4, v2, v4 :: v_dual_max_i32 v2, v9, v6
	s_delay_alu instid0(VALU_DEP_1) | instskip(NEXT) | instid1(VALU_DEP_2)
	v_cmp_le_u32_e32 vcc_lo, s4, v4
	v_mul_u64_e32 v[6:7], s[18:19], v[2:3]
	v_cndmask_b32_e32 v5, v5, v17, vcc_lo
	v_subrev_nc_u32_e32 v17, s4, v4
	s_delay_alu instid0(VALU_DEP_3) | instskip(NEXT) | instid1(VALU_DEP_1)
	v_mul_lo_u32 v6, v7, s4
	v_dual_sub_nc_u32 v2, v2, v6 :: v_dual_bitop2_b32 v8, s8, v8 bitop3:0x14
	v_add_nc_u32_e32 v6, 1, v7
	s_delay_alu instid0(VALU_DEP_2) | instskip(SKIP_1) | instid1(VALU_DEP_1)
	v_subrev_nc_u32_e32 v18, s4, v2
	v_cmp_le_u32_e64 s2, s4, v2
	v_dual_cndmask_b32 v4, v4, v17, vcc_lo :: v_dual_cndmask_b32 v2, v2, v18, s2
	s_delay_alu instid0(VALU_DEP_4) | instskip(SKIP_1) | instid1(VALU_DEP_3)
	v_dual_cndmask_b32 v6, v7, v6, s2 :: v_dual_ashrrev_i32 v7, 31, v9
	v_add_nc_u32_e32 v9, 1, v5
	v_cmp_le_u32_e32 vcc_lo, s4, v4
	s_delay_alu instid0(VALU_DEP_3) | instskip(NEXT) | instid1(VALU_DEP_3)
	v_dual_add_nc_u32 v17, 1, v6 :: v_dual_bitop2_b32 v7, s8, v7 bitop3:0x14
	v_cndmask_b32_e32 v4, v5, v9, vcc_lo
	v_cmp_le_u32_e32 vcc_lo, s4, v2
	s_delay_alu instid0(VALU_DEP_2) | instskip(NEXT) | instid1(VALU_DEP_1)
	v_dual_cndmask_b32 v2, v6, v17, vcc_lo :: v_dual_bitop2_b32 v4, v4, v8 bitop3:0x14
	v_dual_sub_nc_u32 v17, v4, v8 :: v_dual_bitop2_b32 v2, v2, v7 bitop3:0x14
	s_delay_alu instid0(VALU_DEP_1) | instskip(NEXT) | instid1(VALU_DEP_1)
	v_sub_nc_u32_e32 v18, v2, v7
	v_sub_nc_u32_e32 v20, v18, v17
	v_cmp_gt_i32_e64 s2, v18, v17
	s_branch .LBB0_9
.LBB0_8:                                ;   in Loop: Header=BB0_9 Depth=2
	s_or_b32 exec_lo, exec_lo, s3
	v_add_nc_u32_e32 v21, s22, v21
	s_delay_alu instid0(VALU_DEP_1) | instskip(SKIP_1) | instid1(SALU_CYCLE_1)
	v_cmp_ge_i32_e32 vcc_lo, v21, v14
	s_or_b32 s31, vcc_lo, s31
	s_and_not1_b32 exec_lo, exec_lo, s31
	s_cbranch_execz .LBB0_5
.LBB0_9:                                ;   Parent Loop BB0_6 Depth=1
                                        ; =>  This Loop Header: Depth=2
                                        ;       Child Loop BB0_12 Depth 3
                                        ;         Child Loop BB0_15 Depth 4
                                        ;           Child Loop BB0_17 Depth 5
                                        ;       Child Loop BB0_20 Depth 3
	v_mul_lo_u32 v8, v21, s7
	s_delay_alu instid0(VALU_DEP_1) | instskip(NEXT) | instid1(VALU_DEP_1)
	v_dual_sub_nc_u32 v2, 0, v8 :: v_dual_add_nc_u32 v9, s27, v8
	v_dual_sub_nc_u32 v6, 0, v9 :: v_dual_max_i32 v2, v8, v2
	s_delay_alu instid0(VALU_DEP_1) | instskip(NEXT) | instid1(VALU_DEP_1)
	v_mul_u64_e32 v[4:5], s[20:21], v[2:3]
	v_dual_ashrrev_i32 v8, 31, v8 :: v_dual_add_nc_u32 v22, 1, v5
	v_mul_lo_u32 v4, v5, s12
	s_delay_alu instid0(VALU_DEP_1) | instskip(NEXT) | instid1(VALU_DEP_1)
	v_dual_sub_nc_u32 v4, v2, v4 :: v_dual_max_i32 v2, v9, v6
	v_cmp_le_u32_e32 vcc_lo, s12, v4
	s_delay_alu instid0(VALU_DEP_2) | instskip(SKIP_2) | instid1(VALU_DEP_1)
	v_mul_u64_e32 v[6:7], s[20:21], v[2:3]
	v_cndmask_b32_e32 v5, v5, v22, vcc_lo
	v_subrev_nc_u32_e32 v22, s12, v4
	v_cndmask_b32_e32 v4, v4, v22, vcc_lo
	s_delay_alu instid0(VALU_DEP_4) | instskip(NEXT) | instid1(VALU_DEP_1)
	v_mul_lo_u32 v6, v7, s12
	v_dual_sub_nc_u32 v2, v2, v6 :: v_dual_bitop2_b32 v8, s26, v8 bitop3:0x14
	v_add_nc_u32_e32 v6, 1, v7
	s_delay_alu instid0(VALU_DEP_2) | instskip(SKIP_1) | instid1(VALU_DEP_1)
	v_subrev_nc_u32_e32 v23, s12, v2
	v_cmp_le_u32_e64 s3, s12, v2
	v_dual_cndmask_b32 v6, v7, v6, s3 :: v_dual_ashrrev_i32 v7, 31, v9
	s_delay_alu instid0(VALU_DEP_3) | instskip(SKIP_1) | instid1(VALU_DEP_3)
	v_dual_add_nc_u32 v9, 1, v5 :: v_dual_cndmask_b32 v2, v2, v23, s3
	v_cmp_le_u32_e32 vcc_lo, s12, v4
	v_dual_add_nc_u32 v22, 1, v6 :: v_dual_bitop2_b32 v7, s26, v7 bitop3:0x14
	s_delay_alu instid0(VALU_DEP_3) | instskip(NEXT) | instid1(VALU_DEP_4)
	v_cndmask_b32_e32 v4, v5, v9, vcc_lo
	v_cmp_le_u32_e32 vcc_lo, s12, v2
	s_delay_alu instid0(VALU_DEP_2) | instskip(NEXT) | instid1(VALU_DEP_1)
	v_dual_cndmask_b32 v2, v6, v22, vcc_lo :: v_dual_bitop2_b32 v4, v4, v8 bitop3:0x14
	v_dual_sub_nc_u32 v2, v4, v8 :: v_dual_bitop2_b32 v5, v2, v7 bitop3:0x14
	s_delay_alu instid0(VALU_DEP_1)
	v_sub_nc_u32_e32 v22, v5, v7
	s_and_saveexec_b32 s33, s2
	s_cbranch_execz .LBB0_18
; %bb.10:                               ;   in Loop: Header=BB0_9 Depth=2
	v_mov_b32_e32 v23, v17
	s_mov_b32 s34, 0
	v_cmp_gt_i32_e32 vcc_lo, v22, v2
	s_branch .LBB0_12
.LBB0_11:                               ;   in Loop: Header=BB0_12 Depth=3
	s_or_b32 exec_lo, exec_lo, s35
	v_add_nc_u32_e32 v23, 1, v23
	s_delay_alu instid0(VALU_DEP_1) | instskip(SKIP_1) | instid1(SALU_CYCLE_1)
	v_cmp_ge_i32_e64 s3, v23, v18
	s_or_b32 s34, s3, s34
	s_and_not1_b32 exec_lo, exec_lo, s34
	s_cbranch_execz .LBB0_18
.LBB0_12:                               ;   Parent Loop BB0_6 Depth=1
                                        ;     Parent Loop BB0_9 Depth=2
                                        ; =>    This Loop Header: Depth=3
                                        ;         Child Loop BB0_15 Depth 4
                                        ;           Child Loop BB0_17 Depth 5
	s_and_saveexec_b32 s35, vcc_lo
	s_cbranch_execz .LBB0_11
; %bb.13:                               ;   in Loop: Header=BB0_12 Depth=3
	v_mul_lo_u32 v4, v23, s14
	s_mov_b32 s36, 0
	s_delay_alu instid0(VALU_DEP_1) | instskip(NEXT) | instid1(VALU_DEP_1)
	v_dual_mov_b32 v24, v2 :: v_dual_ashrrev_i32 v5, 31, v4
	v_lshl_add_u64 v[4:5], v[4:5], 3, s[16:17]
	s_branch .LBB0_15
.LBB0_14:                               ;   in Loop: Header=BB0_15 Depth=4
	s_or_b32 exec_lo, exec_lo, s37
	v_add_nc_u32_e32 v24, 1, v24
	s_delay_alu instid0(VALU_DEP_1) | instskip(SKIP_1) | instid1(SALU_CYCLE_1)
	v_cmp_ge_i32_e64 s3, v24, v22
	s_or_b32 s36, s3, s36
	s_and_not1_b32 exec_lo, exec_lo, s36
	s_cbranch_execz .LBB0_11
.LBB0_15:                               ;   Parent Loop BB0_6 Depth=1
                                        ;     Parent Loop BB0_9 Depth=2
                                        ;       Parent Loop BB0_12 Depth=3
                                        ; =>      This Loop Header: Depth=4
                                        ;           Child Loop BB0_17 Depth 5
	s_and_saveexec_b32 s37, s0
	s_cbranch_execz .LBB0_14
; %bb.16:                               ;   in Loop: Header=BB0_15 Depth=4
	v_mul_lo_u32 v8, v24, s15
	v_dual_mov_b32 v6, v15 :: v_dual_mov_b32 v26, v12
	s_mov_b32 s38, 0
	s_delay_alu instid0(VALU_DEP_2) | instskip(NEXT) | instid1(VALU_DEP_1)
	v_dual_mov_b32 v25, v16 :: v_dual_ashrrev_i32 v9, 31, v8
	v_lshl_add_u64 v[8:9], v[8:9], 3, v[4:5]
.LBB0_17:                               ;   Parent Loop BB0_6 Depth=1
                                        ;     Parent Loop BB0_9 Depth=2
                                        ;       Parent Loop BB0_12 Depth=3
                                        ;         Parent Loop BB0_15 Depth=4
                                        ; =>        This Inner Loop Header: Depth=5
	s_delay_alu instid0(VALU_DEP_3) | instskip(SKIP_4) | instid1(VALU_DEP_3)
	v_ashrrev_i32_e32 v7, 31, v6
	ds_load_b64 v[30:31], v25
	v_add_nc_u32_e32 v26, s24, v26
	v_lshl_add_u64 v[28:29], v[6:7], 3, v[8:9]
	v_add_nc_u32_e32 v6, s13, v6
	v_cmp_le_i32_e64 s3, s5, v26
	global_load_b64 v[28:29], v[28:29], off
	s_or_b32 s38, s3, s38
	s_wait_loadcnt_dscnt 0x0
	s_wait_xcnt 0x0
	v_add_f64_e32 v[28:29], v[28:29], v[30:31]
	ds_store_b64 v25, v[28:29]
	v_add_nc_u32_e32 v25, s28, v25
	s_and_not1_b32 exec_lo, exec_lo, s38
	s_cbranch_execnz .LBB0_17
	s_branch .LBB0_14
.LBB0_18:                               ;   in Loop: Header=BB0_9 Depth=2
	s_or_b32 exec_lo, exec_lo, s33
	s_and_saveexec_b32 s3, s0
	s_cbranch_execz .LBB0_8
; %bb.19:                               ;   in Loop: Header=BB0_9 Depth=2
	v_sub_nc_u32_e32 v2, v22, v2
	s_mov_b32 s33, 0
	s_delay_alu instid0(VALU_DEP_1) | instskip(NEXT) | instid1(VALU_DEP_1)
	v_mul_lo_u32 v2, v2, v20
	v_cvt_f64_i32_e32 v[4:5], v2
	v_add_nc_u32_e32 v2, v21, v19
	s_delay_alu instid0(VALU_DEP_2) | instskip(NEXT) | instid1(VALU_DEP_1)
	v_div_scale_f64 v[6:7], null, v[4:5], v[4:5], 1.0
	v_rcp_f64_e32 v[8:9], v[6:7]
	v_nop
	s_delay_alu instid0(TRANS32_DEP_1) | instskip(NEXT) | instid1(VALU_DEP_1)
	v_fma_f64 v[22:23], -v[6:7], v[8:9], 1.0
	v_fmac_f64_e32 v[8:9], v[8:9], v[22:23]
	s_delay_alu instid0(VALU_DEP_1) | instskip(NEXT) | instid1(VALU_DEP_1)
	v_fma_f64 v[22:23], -v[6:7], v[8:9], 1.0
	v_fmac_f64_e32 v[8:9], v[8:9], v[22:23]
	v_div_scale_f64 v[22:23], vcc_lo, 1.0, v[4:5], 1.0
	s_delay_alu instid0(VALU_DEP_1) | instskip(NEXT) | instid1(VALU_DEP_1)
	v_mul_f64_e32 v[24:25], v[22:23], v[8:9]
	v_fma_f64 v[6:7], -v[6:7], v[24:25], v[22:23]
	s_delay_alu instid0(VALU_DEP_1) | instskip(SKIP_1) | instid1(VALU_DEP_2)
	v_div_fmas_f64 v[6:7], v[6:7], v[8:9], v[24:25]
	v_mov_b32_e32 v8, v12
	v_div_fixup_f64 v[4:5], v[6:7], v[4:5], 1.0
	v_mul_lo_u32 v6, v2, s5
	s_delay_alu instid0(VALU_DEP_1) | instskip(NEXT) | instid1(VALU_DEP_1)
	v_dual_mov_b32 v2, v16 :: v_dual_ashrrev_i32 v7, 31, v6
	v_lshl_add_u64 v[6:7], v[6:7], 3, s[10:11]
.LBB0_20:                               ;   Parent Loop BB0_6 Depth=1
                                        ;     Parent Loop BB0_9 Depth=2
                                        ; =>    This Inner Loop Header: Depth=3
	ds_load_b64 v[22:23], v2
	ds_store_b64 v2, v[0:1]
	v_dual_ashrrev_i32 v9, 31, v8 :: v_dual_add_nc_u32 v2, s28, v2
	s_delay_alu instid0(VALU_DEP_1) | instskip(SKIP_1) | instid1(VALU_DEP_1)
	v_lshl_add_u64 v[24:25], v[8:9], 3, v[6:7]
	v_add_nc_u32_e32 v8, s24, v8
	v_cmp_le_i32_e32 vcc_lo, s5, v8
	s_or_b32 s33, vcc_lo, s33
	s_wait_dscnt 0x1
	v_mul_f64_e32 v[22:23], v[4:5], v[22:23]
	global_store_b64 v[24:25], v[22:23], off
	s_wait_xcnt 0x0
	s_and_not1_b32 exec_lo, exec_lo, s33
	s_cbranch_execnz .LBB0_20
	s_branch .LBB0_8
.LBB0_21:
	s_endpgm
	.section	.rodata,"a",@progbits
	.p2align	6, 0x0
	.amdhsa_kernel _ZN2at6native12_GLOBAL__N_126adaptive_average_pool_nhwcIidEEvPKT0_PS3_iiiiiiiiT_S7_S7_S7_
		.amdhsa_group_segment_fixed_size 0
		.amdhsa_private_segment_fixed_size 0
		.amdhsa_kernarg_size 320
		.amdhsa_user_sgpr_count 2
		.amdhsa_user_sgpr_dispatch_ptr 0
		.amdhsa_user_sgpr_queue_ptr 0
		.amdhsa_user_sgpr_kernarg_segment_ptr 1
		.amdhsa_user_sgpr_dispatch_id 0
		.amdhsa_user_sgpr_kernarg_preload_length 0
		.amdhsa_user_sgpr_kernarg_preload_offset 0
		.amdhsa_user_sgpr_private_segment_size 0
		.amdhsa_wavefront_size32 1
		.amdhsa_uses_dynamic_stack 0
		.amdhsa_enable_private_segment 0
		.amdhsa_system_sgpr_workgroup_id_x 1
		.amdhsa_system_sgpr_workgroup_id_y 1
		.amdhsa_system_sgpr_workgroup_id_z 1
		.amdhsa_system_sgpr_workgroup_info 0
		.amdhsa_system_vgpr_workitem_id 2
		.amdhsa_next_free_vgpr 32
		.amdhsa_next_free_sgpr 39
		.amdhsa_named_barrier_count 0
		.amdhsa_reserve_vcc 1
		.amdhsa_float_round_mode_32 0
		.amdhsa_float_round_mode_16_64 0
		.amdhsa_float_denorm_mode_32 3
		.amdhsa_float_denorm_mode_16_64 3
		.amdhsa_fp16_overflow 0
		.amdhsa_memory_ordered 1
		.amdhsa_forward_progress 1
		.amdhsa_inst_pref_size 17
		.amdhsa_round_robin_scheduling 0
		.amdhsa_exception_fp_ieee_invalid_op 0
		.amdhsa_exception_fp_denorm_src 0
		.amdhsa_exception_fp_ieee_div_zero 0
		.amdhsa_exception_fp_ieee_overflow 0
		.amdhsa_exception_fp_ieee_underflow 0
		.amdhsa_exception_fp_ieee_inexact 0
		.amdhsa_exception_int_div_zero 0
	.end_amdhsa_kernel
	.section	.text._ZN2at6native12_GLOBAL__N_126adaptive_average_pool_nhwcIidEEvPKT0_PS3_iiiiiiiiT_S7_S7_S7_,"axG",@progbits,_ZN2at6native12_GLOBAL__N_126adaptive_average_pool_nhwcIidEEvPKT0_PS3_iiiiiiiiT_S7_S7_S7_,comdat
.Lfunc_end0:
	.size	_ZN2at6native12_GLOBAL__N_126adaptive_average_pool_nhwcIidEEvPKT0_PS3_iiiiiiiiT_S7_S7_S7_, .Lfunc_end0-_ZN2at6native12_GLOBAL__N_126adaptive_average_pool_nhwcIidEEvPKT0_PS3_iiiiiiiiT_S7_S7_S7_
                                        ; -- End function
	.set _ZN2at6native12_GLOBAL__N_126adaptive_average_pool_nhwcIidEEvPKT0_PS3_iiiiiiiiT_S7_S7_S7_.num_vgpr, 32
	.set _ZN2at6native12_GLOBAL__N_126adaptive_average_pool_nhwcIidEEvPKT0_PS3_iiiiiiiiT_S7_S7_S7_.num_agpr, 0
	.set _ZN2at6native12_GLOBAL__N_126adaptive_average_pool_nhwcIidEEvPKT0_PS3_iiiiiiiiT_S7_S7_S7_.numbered_sgpr, 39
	.set _ZN2at6native12_GLOBAL__N_126adaptive_average_pool_nhwcIidEEvPKT0_PS3_iiiiiiiiT_S7_S7_S7_.num_named_barrier, 0
	.set _ZN2at6native12_GLOBAL__N_126adaptive_average_pool_nhwcIidEEvPKT0_PS3_iiiiiiiiT_S7_S7_S7_.private_seg_size, 0
	.set _ZN2at6native12_GLOBAL__N_126adaptive_average_pool_nhwcIidEEvPKT0_PS3_iiiiiiiiT_S7_S7_S7_.uses_vcc, 1
	.set _ZN2at6native12_GLOBAL__N_126adaptive_average_pool_nhwcIidEEvPKT0_PS3_iiiiiiiiT_S7_S7_S7_.uses_flat_scratch, 0
	.set _ZN2at6native12_GLOBAL__N_126adaptive_average_pool_nhwcIidEEvPKT0_PS3_iiiiiiiiT_S7_S7_S7_.has_dyn_sized_stack, 0
	.set _ZN2at6native12_GLOBAL__N_126adaptive_average_pool_nhwcIidEEvPKT0_PS3_iiiiiiiiT_S7_S7_S7_.has_recursion, 0
	.set _ZN2at6native12_GLOBAL__N_126adaptive_average_pool_nhwcIidEEvPKT0_PS3_iiiiiiiiT_S7_S7_S7_.has_indirect_call, 0
	.section	.AMDGPU.csdata,"",@progbits
; Kernel info:
; codeLenInByte = 2056
; TotalNumSgprs: 41
; NumVgprs: 32
; ScratchSize: 0
; MemoryBound: 0
; FloatMode: 240
; IeeeMode: 1
; LDSByteSize: 0 bytes/workgroup (compile time only)
; SGPRBlocks: 0
; VGPRBlocks: 1
; NumSGPRsForWavesPerEU: 41
; NumVGPRsForWavesPerEU: 32
; NamedBarCnt: 0
; Occupancy: 16
; WaveLimiterHint : 0
; COMPUTE_PGM_RSRC2:SCRATCH_EN: 0
; COMPUTE_PGM_RSRC2:USER_SGPR: 2
; COMPUTE_PGM_RSRC2:TRAP_HANDLER: 0
; COMPUTE_PGM_RSRC2:TGID_X_EN: 1
; COMPUTE_PGM_RSRC2:TGID_Y_EN: 1
; COMPUTE_PGM_RSRC2:TGID_Z_EN: 1
; COMPUTE_PGM_RSRC2:TIDIG_COMP_CNT: 2
	.section	.text._ZN2at6native12_GLOBAL__N_126adaptive_average_pool_nhwcIifEEvPKT0_PS3_iiiiiiiiT_S7_S7_S7_,"axG",@progbits,_ZN2at6native12_GLOBAL__N_126adaptive_average_pool_nhwcIifEEvPKT0_PS3_iiiiiiiiT_S7_S7_S7_,comdat
	.globl	_ZN2at6native12_GLOBAL__N_126adaptive_average_pool_nhwcIifEEvPKT0_PS3_iiiiiiiiT_S7_S7_S7_ ; -- Begin function _ZN2at6native12_GLOBAL__N_126adaptive_average_pool_nhwcIifEEvPKT0_PS3_iiiiiiiiT_S7_S7_S7_
	.p2align	8
	.type	_ZN2at6native12_GLOBAL__N_126adaptive_average_pool_nhwcIifEEvPKT0_PS3_iiiiiiiiT_S7_S7_S7_,@function
_ZN2at6native12_GLOBAL__N_126adaptive_average_pool_nhwcIifEEvPKT0_PS3_iiiiiiiiT_S7_S7_S7_: ; @_ZN2at6native12_GLOBAL__N_126adaptive_average_pool_nhwcIifEEvPKT0_PS3_iiiiiiiiT_S7_S7_S7_
; %bb.0:
	s_clause 0x1
	s_load_b128 s[16:19], s[0:1], 0x44
	s_load_b256 s[4:11], s[0:1], 0x10
	v_bfe_u32 v1, v0, 10, 10
	v_bfe_u32 v3, v0, 20, 10
	s_load_b128 s[12:15], s[0:1], 0x30
	v_and_b32_e32 v0, 0x3ff, v0
	s_mov_b32 s3, exec_lo
	s_wait_kmcnt 0x0
	s_lshr_b32 s22, s18, 16
	s_and_b32 s28, s18, 0xffff
	v_mad_u32_u24 v2, v3, s22, v1
	s_mul_i32 s2, s11, s28
	s_and_b32 s23, s19, 0xffff
	s_mul_i32 s2, s2, s22
	s_delay_alu instid0(SALU_CYCLE_1) | instskip(SKIP_1) | instid1(VALU_DEP_1)
	s_mul_i32 s2, s2, s23
	v_mad_u32 v4, v2, s28, v0
	v_cmpx_gt_u32_e64 s2, v4
	s_cbranch_execz .LBB1_3
; %bb.1:
	s_mul_i32 s18, s22, s28
	v_lshl_add_u32 v5, v4, 2, 0
	v_mov_b32_e32 v6, 0
	s_mul_i32 s18, s18, s23
	s_mov_b32 s19, 0
	s_lshl_b32 s20, s18, 2
.LBB1_2:                                ; =>This Inner Loop Header: Depth=1
	v_add_nc_u32_e32 v4, s18, v4
	ds_store_b32 v5, v6
	v_add_nc_u32_e32 v5, s20, v5
	v_cmp_le_u32_e32 vcc_lo, s2, v4
	s_or_b32 s19, vcc_lo, s19
	s_delay_alu instid0(SALU_CYCLE_1)
	s_and_not1_b32 exec_lo, exec_lo, s19
	s_cbranch_execnz .LBB1_2
.LBB1_3:
	s_or_b32 exec_lo, exec_lo, s3
	s_cvt_f32_u32 s18, s17
	s_sub_co_i32 s19, 0, s17
	s_add_co_i32 s20, s8, -1
	s_load_b128 s[0:3], s[0:1], 0x0
	v_rcp_iflag_f32_e32 v4, s18
	s_add_co_i32 s21, s20, s17
	s_wait_dscnt 0x0
	s_barrier_signal -1
	s_barrier_wait -1
	v_nop
	s_delay_alu instid0(TRANS32_DEP_1) | instskip(SKIP_1) | instid1(SALU_CYCLE_3)
	v_readfirstlane_b32 s18, v4
	s_mul_f32 s18, s18, 0x4f7ffffe
	s_cvt_u32_f32 s18, s18
	s_delay_alu instid0(SALU_CYCLE_3) | instskip(NEXT) | instid1(SALU_CYCLE_1)
	s_mul_i32 s19, s19, s18
	s_mul_hi_u32 s19, s18, s19
	s_delay_alu instid0(SALU_CYCLE_1) | instskip(NEXT) | instid1(SALU_CYCLE_1)
	s_add_co_i32 s18, s18, s19
	s_mul_hi_u32 s18, s21, s18
	s_delay_alu instid0(SALU_CYCLE_1) | instskip(NEXT) | instid1(SALU_CYCLE_1)
	s_mul_i32 s19, s18, s17
	s_sub_co_i32 s19, s21, s19
	s_add_co_i32 s21, s18, 1
	s_sub_co_i32 s24, s19, s17
	s_cmp_ge_u32 s19, s17
	s_cselect_b32 s18, s21, s18
	s_cselect_b32 s19, s24, s19
	s_add_co_i32 s21, s18, 1
	s_cmp_ge_u32 s19, s17
	s_getreg_b32 s17, hwreg(HW_REG_IB_STS2, 6, 4)
	s_cselect_b32 s18, s21, s18
	s_bfe_u32 s21, ttmp6, 0x40014
	s_bfe_u32 s26, ttmp6, 0x40010
	;; [unrolled: 1-line block ×3, first 2 shown]
	s_lshr_b32 s19, ttmp7, 16
	s_and_b32 s25, ttmp7, 0xffff
	s_add_co_i32 s21, s21, 1
	s_add_co_i32 s26, s26, 1
	;; [unrolled: 1-line block ×3, first 2 shown]
	s_bfe_u32 s24, ttmp6, 0x40008
	s_bfe_u32 s27, ttmp6, 0x40004
	s_and_b32 s29, ttmp6, 15
	s_mul_i32 s21, s19, s21
	s_mul_i32 s26, s25, s26
	s_mul_i32 s30, ttmp9, s30
	s_add_co_i32 s24, s24, s21
	s_add_co_i32 s27, s27, s26
	;; [unrolled: 1-line block ×3, first 2 shown]
	s_cmp_eq_u32 s17, 0
	s_cselect_b32 s17, s19, s24
	s_cvt_f32_u32 s19, s4
	v_mad_u32 v8, s18, s17, v3
	s_cvt_f32_u32 s17, s16
	s_delay_alu instid0(SALU_CYCLE_1) | instskip(SKIP_1) | instid1(SALU_CYCLE_1)
	v_rcp_iflag_f32_e32 v3, s19
	s_mov_b32 s19, 0
	v_rcp_iflag_f32_e32 v4, s17
	s_cselect_b32 s17, s25, s27
	s_mov_b32 s25, exec_lo
	s_delay_alu instid0(TRANS32_DEP_2) | instskip(NEXT) | instid1(VALU_DEP_2)
	v_readfirstlane_b32 s24, v3
	v_add_min_i32_e64 v9, v8, s18, s8
	s_delay_alu instid0(TRANS32_DEP_1)
	v_readfirstlane_b32 s21, v4
	s_cselect_b32 s18, ttmp9, s29
	v_cmpx_lt_i32_e64 v8, v9
	s_cbranch_execz .LBB1_21
; %bb.4:
	s_mul_f32 s24, s24, 0x4f7ffffe
	s_sub_co_i32 s26, 0, s4
	s_mul_f32 s21, s21, 0x4f7ffffe
	s_sub_co_i32 s30, 0, s16
	s_cvt_u32_f32 s24, s24
	s_mov_b32 s25, s19
	s_cvt_u32_f32 s21, s21
	s_add_co_i32 s29, s9, -1
	s_mul_i32 s26, s26, s24
	s_mov_b32 s27, s19
	s_mul_hi_u32 s31, s24, s26
	s_mul_i32 s30, s30, s21
	s_add_co_i32 s24, s24, s31
	s_add_co_i32 s26, s29, s16
	s_mul_u64 s[24:25], s[18:19], s[24:25]
	s_mul_hi_u32 s24, s21, s30
	s_mul_i32 s31, s25, s4
	s_add_co_i32 s30, s21, s24
	s_sub_co_i32 s21, s18, s31
	s_add_co_i32 s24, s25, 1
	s_sub_co_i32 s33, s21, s4
	s_cmp_ge_u32 s21, s4
	s_mov_b32 s31, s19
	s_cselect_b32 s24, s24, s25
	s_cselect_b32 s21, s33, s21
	s_add_co_i32 s25, s24, 1
	s_cmp_ge_u32 s21, s4
	s_mul_i32 s21, s8, s5
	s_cselect_b32 s33, s25, s24
	s_mul_i32 s21, s21, s9
	s_mul_i32 s4, s33, s4
	s_mul_u64 s[24:25], s[26:27], s[30:31]
	s_sub_co_i32 s4, s18, s4
	s_mul_i32 s18, s25, s16
	s_mul_i32 s30, s21, s4
	;; [unrolled: 1-line block ×3, first 2 shown]
	s_ashr_i32 s31, s30, 31
	s_ashr_i32 s35, s34, 31
	s_sub_co_i32 s4, s26, s18
	s_lshl_b64 s[30:31], s[30:31], 2
	s_lshl_b64 s[34:35], s[34:35], 2
	s_add_co_i32 s12, s25, 1
	s_sub_co_i32 s18, s4, s16
	s_cmp_ge_u32 s4, s16
	v_mul_lo_u32 v2, s11, v2
	s_cselect_b32 s12, s12, s25
	s_cselect_b32 s4, s18, s4
	s_add_co_i32 s18, s12, 1
	s_cmp_ge_u32 s4, s16
	v_mad_u32 v10, s33, s28, v0
	s_cselect_b32 s18, s18, s12
	s_abs_i32 s4, s8
	s_abs_i32 s12, s9
	s_cvt_f32_u32 s16, s4
	s_cvt_f32_u32 s11, s12
	v_mad_u32 v11, s18, s17, v1
	v_mul_lo_u32 v1, v2, s28
	v_rcp_iflag_f32_e32 v3, s16
	v_rcp_iflag_f32_e32 v4, s11
	s_wait_kmcnt 0x0
	s_add_nc_u64 s[16:17], s[0:1], s[34:35]
	s_mul_i32 s24, s10, s28
	s_add_nc_u64 s[10:11], s[2:3], s[30:31]
	v_mul_lo_u32 v13, s13, v10
	s_sub_co_i32 s3, 0, s4
	v_readfirstlane_b32 s21, v3
	v_readfirstlane_b32 s1, v4
	v_add_min_i32_e64 v12, v11, s18, s9
	v_dual_lshlrev_b32 v1, 2, v1 :: v_dual_lshlrev_b32 v0, 2, v0
	s_mul_f32 s2, s21, 0x4f7ffffe
	s_mul_f32 s1, s1, 0x4f7ffffe
	s_sub_co_i32 s21, 0, s12
	v_cmp_gt_i32_e64 s0, s5, v10
	s_cvt_u32_f32 s2, s2
	s_cvt_u32_f32 s27, s1
	v_cmp_lt_i32_e64 s1, v11, v12
	v_add3_u32 v14, v1, v0, 0
	s_mul_i32 s3, s3, s2
	s_mul_i32 s21, s21, s27
	s_mul_hi_u32 s3, s2, s3
	v_mov_b32_e32 v1, 0
	s_add_co_i32 s18, s2, s3
	s_mul_hi_u32 s2, s27, s21
	s_ashr_i32 s8, s8, 31
	s_add_co_i32 s25, s6, s20
	s_ashr_i32 s26, s9, 31
	s_add_co_i32 s20, s27, s2
	s_mov_b32 s21, s19
	s_add_co_i32 s27, s7, s29
	s_mul_i32 s13, s24, s13
	s_lshl_b32 s28, s28, 2
	s_mov_b32 s29, s19
	s_branch .LBB1_6
.LBB1_5:                                ;   in Loop: Header=BB1_6 Depth=1
	s_or_b32 exec_lo, exec_lo, s30
	v_add_nc_u32_e32 v8, s23, v8
	s_delay_alu instid0(VALU_DEP_1) | instskip(SKIP_1) | instid1(SALU_CYCLE_1)
	v_cmp_ge_i32_e32 vcc_lo, v8, v9
	s_or_b32 s29, vcc_lo, s29
	s_and_not1_b32 exec_lo, exec_lo, s29
	s_cbranch_execz .LBB1_21
.LBB1_6:                                ; =>This Loop Header: Depth=1
                                        ;     Child Loop BB1_9 Depth 2
                                        ;       Child Loop BB1_12 Depth 3
                                        ;         Child Loop BB1_15 Depth 4
                                        ;           Child Loop BB1_17 Depth 5
                                        ;       Child Loop BB1_20 Depth 3
	s_and_saveexec_b32 s30, s1
	s_cbranch_execz .LBB1_5
; %bb.7:                                ;   in Loop: Header=BB1_6 Depth=1
	v_mul_lo_u32 v6, v8, s6
	v_mul_lo_u32 v17, v8, s9
	s_mov_b32 s31, 0
	s_delay_alu instid0(VALU_DEP_2) | instskip(NEXT) | instid1(VALU_DEP_1)
	v_dual_mov_b32 v19, v11 :: v_dual_sub_nc_u32 v0, 0, v6
	v_dual_add_nc_u32 v7, s25, v6 :: v_dual_max_i32 v0, v6, v0
	s_delay_alu instid0(VALU_DEP_1) | instskip(NEXT) | instid1(VALU_DEP_2)
	v_sub_nc_u32_e32 v4, 0, v7
	v_mul_u64_e32 v[2:3], s[18:19], v[0:1]
	s_delay_alu instid0(VALU_DEP_1) | instskip(SKIP_1) | instid1(VALU_DEP_1)
	v_dual_ashrrev_i32 v6, 31, v6 :: v_dual_add_nc_u32 v15, 1, v3
	v_mul_lo_u32 v2, v3, s4
	v_dual_sub_nc_u32 v2, v0, v2 :: v_dual_max_i32 v0, v7, v4
	s_delay_alu instid0(VALU_DEP_1) | instskip(NEXT) | instid1(VALU_DEP_2)
	v_cmp_le_u32_e32 vcc_lo, s4, v2
	v_mul_u64_e32 v[4:5], s[18:19], v[0:1]
	v_cndmask_b32_e32 v3, v3, v15, vcc_lo
	v_subrev_nc_u32_e32 v15, s4, v2
	s_delay_alu instid0(VALU_DEP_3) | instskip(NEXT) | instid1(VALU_DEP_1)
	v_mul_lo_u32 v4, v5, s4
	v_dual_sub_nc_u32 v0, v0, v4 :: v_dual_bitop2_b32 v6, s8, v6 bitop3:0x14
	v_add_nc_u32_e32 v4, 1, v5
	s_delay_alu instid0(VALU_DEP_2) | instskip(SKIP_1) | instid1(VALU_DEP_1)
	v_subrev_nc_u32_e32 v16, s4, v0
	v_cmp_le_u32_e64 s2, s4, v0
	v_dual_cndmask_b32 v2, v2, v15, vcc_lo :: v_dual_cndmask_b32 v0, v0, v16, s2
	s_delay_alu instid0(VALU_DEP_4) | instskip(SKIP_1) | instid1(VALU_DEP_3)
	v_dual_cndmask_b32 v4, v5, v4, s2 :: v_dual_ashrrev_i32 v5, 31, v7
	v_add_nc_u32_e32 v7, 1, v3
	v_cmp_le_u32_e32 vcc_lo, s4, v2
	s_delay_alu instid0(VALU_DEP_3) | instskip(NEXT) | instid1(VALU_DEP_3)
	v_dual_add_nc_u32 v15, 1, v4 :: v_dual_bitop2_b32 v5, s8, v5 bitop3:0x14
	v_cndmask_b32_e32 v2, v3, v7, vcc_lo
	v_cmp_le_u32_e32 vcc_lo, s4, v0
	s_delay_alu instid0(VALU_DEP_2) | instskip(NEXT) | instid1(VALU_DEP_1)
	v_dual_cndmask_b32 v0, v4, v15, vcc_lo :: v_dual_bitop2_b32 v2, v2, v6 bitop3:0x14
	v_dual_sub_nc_u32 v15, v2, v6 :: v_dual_bitop2_b32 v0, v0, v5 bitop3:0x14
	s_delay_alu instid0(VALU_DEP_1) | instskip(NEXT) | instid1(VALU_DEP_1)
	v_sub_nc_u32_e32 v16, v0, v5
	v_sub_nc_u32_e32 v18, v16, v15
	v_cmp_gt_i32_e64 s2, v16, v15
	s_branch .LBB1_9
.LBB1_8:                                ;   in Loop: Header=BB1_9 Depth=2
	s_or_b32 exec_lo, exec_lo, s3
	v_add_nc_u32_e32 v19, s22, v19
	s_delay_alu instid0(VALU_DEP_1) | instskip(SKIP_1) | instid1(SALU_CYCLE_1)
	v_cmp_ge_i32_e32 vcc_lo, v19, v12
	s_or_b32 s31, vcc_lo, s31
	s_and_not1_b32 exec_lo, exec_lo, s31
	s_cbranch_execz .LBB1_5
.LBB1_9:                                ;   Parent Loop BB1_6 Depth=1
                                        ; =>  This Loop Header: Depth=2
                                        ;       Child Loop BB1_12 Depth 3
                                        ;         Child Loop BB1_15 Depth 4
                                        ;           Child Loop BB1_17 Depth 5
                                        ;       Child Loop BB1_20 Depth 3
	v_mul_lo_u32 v6, v19, s7
	s_delay_alu instid0(VALU_DEP_1) | instskip(NEXT) | instid1(VALU_DEP_1)
	v_dual_sub_nc_u32 v0, 0, v6 :: v_dual_add_nc_u32 v7, s27, v6
	v_dual_sub_nc_u32 v4, 0, v7 :: v_dual_max_i32 v0, v6, v0
	s_delay_alu instid0(VALU_DEP_1) | instskip(NEXT) | instid1(VALU_DEP_1)
	v_mul_u64_e32 v[2:3], s[20:21], v[0:1]
	v_dual_ashrrev_i32 v6, 31, v6 :: v_dual_add_nc_u32 v20, 1, v3
	v_mul_lo_u32 v2, v3, s12
	s_delay_alu instid0(VALU_DEP_1) | instskip(NEXT) | instid1(VALU_DEP_1)
	v_dual_sub_nc_u32 v2, v0, v2 :: v_dual_max_i32 v0, v7, v4
	v_cmp_le_u32_e32 vcc_lo, s12, v2
	s_delay_alu instid0(VALU_DEP_2) | instskip(SKIP_2) | instid1(VALU_DEP_1)
	v_mul_u64_e32 v[4:5], s[20:21], v[0:1]
	v_cndmask_b32_e32 v3, v3, v20, vcc_lo
	v_subrev_nc_u32_e32 v20, s12, v2
	v_cndmask_b32_e32 v2, v2, v20, vcc_lo
	s_delay_alu instid0(VALU_DEP_4) | instskip(NEXT) | instid1(VALU_DEP_1)
	v_mul_lo_u32 v4, v5, s12
	v_dual_sub_nc_u32 v0, v0, v4 :: v_dual_bitop2_b32 v6, s26, v6 bitop3:0x14
	v_add_nc_u32_e32 v4, 1, v5
	s_delay_alu instid0(VALU_DEP_2) | instskip(SKIP_1) | instid1(VALU_DEP_1)
	v_subrev_nc_u32_e32 v21, s12, v0
	v_cmp_le_u32_e64 s3, s12, v0
	v_dual_cndmask_b32 v4, v5, v4, s3 :: v_dual_ashrrev_i32 v5, 31, v7
	s_delay_alu instid0(VALU_DEP_3) | instskip(SKIP_1) | instid1(VALU_DEP_3)
	v_dual_add_nc_u32 v7, 1, v3 :: v_dual_cndmask_b32 v0, v0, v21, s3
	v_cmp_le_u32_e32 vcc_lo, s12, v2
	v_dual_add_nc_u32 v20, 1, v4 :: v_dual_bitop2_b32 v5, s26, v5 bitop3:0x14
	s_delay_alu instid0(VALU_DEP_3) | instskip(NEXT) | instid1(VALU_DEP_4)
	v_cndmask_b32_e32 v2, v3, v7, vcc_lo
	v_cmp_le_u32_e32 vcc_lo, s12, v0
	s_delay_alu instid0(VALU_DEP_2) | instskip(NEXT) | instid1(VALU_DEP_1)
	v_dual_cndmask_b32 v0, v4, v20, vcc_lo :: v_dual_bitop2_b32 v2, v2, v6 bitop3:0x14
	v_dual_sub_nc_u32 v0, v2, v6 :: v_dual_bitop2_b32 v3, v0, v5 bitop3:0x14
	s_delay_alu instid0(VALU_DEP_1)
	v_sub_nc_u32_e32 v20, v3, v5
	s_and_saveexec_b32 s33, s2
	s_cbranch_execz .LBB1_18
; %bb.10:                               ;   in Loop: Header=BB1_9 Depth=2
	v_mov_b32_e32 v21, v15
	s_mov_b32 s34, 0
	v_cmp_gt_i32_e32 vcc_lo, v20, v0
	s_branch .LBB1_12
.LBB1_11:                               ;   in Loop: Header=BB1_12 Depth=3
	s_or_b32 exec_lo, exec_lo, s35
	v_add_nc_u32_e32 v21, 1, v21
	s_delay_alu instid0(VALU_DEP_1) | instskip(SKIP_1) | instid1(SALU_CYCLE_1)
	v_cmp_ge_i32_e64 s3, v21, v16
	s_or_b32 s34, s3, s34
	s_and_not1_b32 exec_lo, exec_lo, s34
	s_cbranch_execz .LBB1_18
.LBB1_12:                               ;   Parent Loop BB1_6 Depth=1
                                        ;     Parent Loop BB1_9 Depth=2
                                        ; =>    This Loop Header: Depth=3
                                        ;         Child Loop BB1_15 Depth 4
                                        ;           Child Loop BB1_17 Depth 5
	s_and_saveexec_b32 s35, vcc_lo
	s_cbranch_execz .LBB1_11
; %bb.13:                               ;   in Loop: Header=BB1_12 Depth=3
	v_mul_lo_u32 v2, v21, s14
	s_mov_b32 s36, 0
	s_delay_alu instid0(VALU_DEP_1) | instskip(NEXT) | instid1(VALU_DEP_1)
	v_dual_mov_b32 v22, v0 :: v_dual_ashrrev_i32 v3, 31, v2
	v_lshl_add_u64 v[2:3], v[2:3], 2, s[16:17]
	s_branch .LBB1_15
.LBB1_14:                               ;   in Loop: Header=BB1_15 Depth=4
	s_or_b32 exec_lo, exec_lo, s37
	v_add_nc_u32_e32 v22, 1, v22
	s_delay_alu instid0(VALU_DEP_1) | instskip(SKIP_1) | instid1(SALU_CYCLE_1)
	v_cmp_ge_i32_e64 s3, v22, v20
	s_or_b32 s36, s3, s36
	s_and_not1_b32 exec_lo, exec_lo, s36
	s_cbranch_execz .LBB1_11
.LBB1_15:                               ;   Parent Loop BB1_6 Depth=1
                                        ;     Parent Loop BB1_9 Depth=2
                                        ;       Parent Loop BB1_12 Depth=3
                                        ; =>      This Loop Header: Depth=4
                                        ;           Child Loop BB1_17 Depth 5
	s_and_saveexec_b32 s37, s0
	s_cbranch_execz .LBB1_14
; %bb.16:                               ;   in Loop: Header=BB1_15 Depth=4
	v_mul_lo_u32 v6, v22, s15
	v_dual_mov_b32 v4, v13 :: v_dual_mov_b32 v24, v10
	s_mov_b32 s38, 0
	s_delay_alu instid0(VALU_DEP_2) | instskip(NEXT) | instid1(VALU_DEP_1)
	v_dual_mov_b32 v23, v14 :: v_dual_ashrrev_i32 v7, 31, v6
	v_lshl_add_u64 v[6:7], v[6:7], 2, v[2:3]
.LBB1_17:                               ;   Parent Loop BB1_6 Depth=1
                                        ;     Parent Loop BB1_9 Depth=2
                                        ;       Parent Loop BB1_12 Depth=3
                                        ;         Parent Loop BB1_15 Depth=4
                                        ; =>        This Inner Loop Header: Depth=5
	s_delay_alu instid0(VALU_DEP_3)
	v_ashrrev_i32_e32 v5, 31, v4
	ds_load_b32 v25, v23
	v_lshl_add_u64 v[26:27], v[4:5], 2, v[6:7]
	v_add_nc_u32_e32 v4, s13, v4
	global_load_b32 v5, v[26:27], off
	s_wait_loadcnt_dscnt 0x0
	v_dual_add_f32 v5, v5, v25 :: v_dual_add_nc_u32 v24, s24, v24
	s_delay_alu instid0(VALU_DEP_1)
	v_cmp_le_i32_e64 s3, s5, v24
	ds_store_b32 v23, v5
	v_add_nc_u32_e32 v23, s28, v23
	s_or_b32 s38, s3, s38
	s_wait_xcnt 0x0
	s_and_not1_b32 exec_lo, exec_lo, s38
	s_cbranch_execnz .LBB1_17
	s_branch .LBB1_14
.LBB1_18:                               ;   in Loop: Header=BB1_9 Depth=2
	s_or_b32 exec_lo, exec_lo, s33
	s_and_saveexec_b32 s3, s0
	s_cbranch_execz .LBB1_8
; %bb.19:                               ;   in Loop: Header=BB1_9 Depth=2
	v_sub_nc_u32_e32 v0, v20, v0
	s_mov_b32 s33, 0
	s_delay_alu instid0(VALU_DEP_1) | instskip(NEXT) | instid1(VALU_DEP_1)
	v_mul_lo_u32 v0, v0, v18
	v_cvt_f32_i32_e32 v4, v0
	s_delay_alu instid0(VALU_DEP_1) | instskip(SKIP_1) | instid1(VALU_DEP_2)
	v_div_scale_f32 v0, null, v4, v4, 1.0
	v_div_scale_f32 v3, vcc_lo, 1.0, v4, 1.0
	v_rcp_f32_e32 v5, v0
	v_nop
	s_delay_alu instid0(TRANS32_DEP_1) | instskip(NEXT) | instid1(VALU_DEP_1)
	v_fma_f32 v2, -v0, v5, 1.0
	v_fmac_f32_e32 v5, v2, v5
	v_add_nc_u32_e32 v2, v19, v17
	s_delay_alu instid0(VALU_DEP_1) | instskip(NEXT) | instid1(VALU_DEP_3)
	v_mul_lo_u32 v2, v2, s5
	v_mul_f32_e32 v6, v3, v5
	s_delay_alu instid0(VALU_DEP_1) | instskip(NEXT) | instid1(VALU_DEP_1)
	v_fma_f32 v7, -v0, v6, v3
	v_fmac_f32_e32 v6, v7, v5
	s_delay_alu instid0(VALU_DEP_1) | instskip(SKIP_1) | instid1(VALU_DEP_2)
	v_fma_f32 v0, -v0, v6, v3
	v_ashrrev_i32_e32 v3, 31, v2
	v_div_fmas_f32 v5, v0, v5, v6
	v_mov_b32_e32 v0, v14
	s_delay_alu instid0(VALU_DEP_3) | instskip(NEXT) | instid1(VALU_DEP_3)
	v_lshl_add_u64 v[2:3], v[2:3], 2, s[10:11]
	v_div_fixup_f32 v6, v5, v4, 1.0
	v_mov_b32_e32 v4, v10
.LBB1_20:                               ;   Parent Loop BB1_6 Depth=1
                                        ;     Parent Loop BB1_9 Depth=2
                                        ; =>    This Inner Loop Header: Depth=3
	ds_load_b32 v7, v0
	v_ashrrev_i32_e32 v5, 31, v4
	ds_store_b32 v0, v1
	v_add_nc_u32_e32 v0, s28, v0
	v_lshl_add_u64 v[20:21], v[4:5], 2, v[2:3]
	v_add_nc_u32_e32 v4, s24, v4
	s_delay_alu instid0(VALU_DEP_1)
	v_cmp_le_i32_e32 vcc_lo, s5, v4
	s_or_b32 s33, vcc_lo, s33
	s_wait_dscnt 0x1
	v_mul_f32_e32 v5, v6, v7
	global_store_b32 v[20:21], v5, off
	s_wait_xcnt 0x0
	s_and_not1_b32 exec_lo, exec_lo, s33
	s_cbranch_execnz .LBB1_20
	s_branch .LBB1_8
.LBB1_21:
	s_endpgm
	.section	.rodata,"a",@progbits
	.p2align	6, 0x0
	.amdhsa_kernel _ZN2at6native12_GLOBAL__N_126adaptive_average_pool_nhwcIifEEvPKT0_PS3_iiiiiiiiT_S7_S7_S7_
		.amdhsa_group_segment_fixed_size 0
		.amdhsa_private_segment_fixed_size 0
		.amdhsa_kernarg_size 320
		.amdhsa_user_sgpr_count 2
		.amdhsa_user_sgpr_dispatch_ptr 0
		.amdhsa_user_sgpr_queue_ptr 0
		.amdhsa_user_sgpr_kernarg_segment_ptr 1
		.amdhsa_user_sgpr_dispatch_id 0
		.amdhsa_user_sgpr_kernarg_preload_length 0
		.amdhsa_user_sgpr_kernarg_preload_offset 0
		.amdhsa_user_sgpr_private_segment_size 0
		.amdhsa_wavefront_size32 1
		.amdhsa_uses_dynamic_stack 0
		.amdhsa_enable_private_segment 0
		.amdhsa_system_sgpr_workgroup_id_x 1
		.amdhsa_system_sgpr_workgroup_id_y 1
		.amdhsa_system_sgpr_workgroup_id_z 1
		.amdhsa_system_sgpr_workgroup_info 0
		.amdhsa_system_vgpr_workitem_id 2
		.amdhsa_next_free_vgpr 28
		.amdhsa_next_free_sgpr 39
		.amdhsa_named_barrier_count 0
		.amdhsa_reserve_vcc 1
		.amdhsa_float_round_mode_32 0
		.amdhsa_float_round_mode_16_64 0
		.amdhsa_float_denorm_mode_32 3
		.amdhsa_float_denorm_mode_16_64 3
		.amdhsa_fp16_overflow 0
		.amdhsa_memory_ordered 1
		.amdhsa_forward_progress 1
		.amdhsa_inst_pref_size 17
		.amdhsa_round_robin_scheduling 0
		.amdhsa_exception_fp_ieee_invalid_op 0
		.amdhsa_exception_fp_denorm_src 0
		.amdhsa_exception_fp_ieee_div_zero 0
		.amdhsa_exception_fp_ieee_overflow 0
		.amdhsa_exception_fp_ieee_underflow 0
		.amdhsa_exception_fp_ieee_inexact 0
		.amdhsa_exception_int_div_zero 0
	.end_amdhsa_kernel
	.section	.text._ZN2at6native12_GLOBAL__N_126adaptive_average_pool_nhwcIifEEvPKT0_PS3_iiiiiiiiT_S7_S7_S7_,"axG",@progbits,_ZN2at6native12_GLOBAL__N_126adaptive_average_pool_nhwcIifEEvPKT0_PS3_iiiiiiiiT_S7_S7_S7_,comdat
.Lfunc_end1:
	.size	_ZN2at6native12_GLOBAL__N_126adaptive_average_pool_nhwcIifEEvPKT0_PS3_iiiiiiiiT_S7_S7_S7_, .Lfunc_end1-_ZN2at6native12_GLOBAL__N_126adaptive_average_pool_nhwcIifEEvPKT0_PS3_iiiiiiiiT_S7_S7_S7_
                                        ; -- End function
	.set _ZN2at6native12_GLOBAL__N_126adaptive_average_pool_nhwcIifEEvPKT0_PS3_iiiiiiiiT_S7_S7_S7_.num_vgpr, 28
	.set _ZN2at6native12_GLOBAL__N_126adaptive_average_pool_nhwcIifEEvPKT0_PS3_iiiiiiiiT_S7_S7_S7_.num_agpr, 0
	.set _ZN2at6native12_GLOBAL__N_126adaptive_average_pool_nhwcIifEEvPKT0_PS3_iiiiiiiiT_S7_S7_S7_.numbered_sgpr, 39
	.set _ZN2at6native12_GLOBAL__N_126adaptive_average_pool_nhwcIifEEvPKT0_PS3_iiiiiiiiT_S7_S7_S7_.num_named_barrier, 0
	.set _ZN2at6native12_GLOBAL__N_126adaptive_average_pool_nhwcIifEEvPKT0_PS3_iiiiiiiiT_S7_S7_S7_.private_seg_size, 0
	.set _ZN2at6native12_GLOBAL__N_126adaptive_average_pool_nhwcIifEEvPKT0_PS3_iiiiiiiiT_S7_S7_S7_.uses_vcc, 1
	.set _ZN2at6native12_GLOBAL__N_126adaptive_average_pool_nhwcIifEEvPKT0_PS3_iiiiiiiiT_S7_S7_S7_.uses_flat_scratch, 0
	.set _ZN2at6native12_GLOBAL__N_126adaptive_average_pool_nhwcIifEEvPKT0_PS3_iiiiiiiiT_S7_S7_S7_.has_dyn_sized_stack, 0
	.set _ZN2at6native12_GLOBAL__N_126adaptive_average_pool_nhwcIifEEvPKT0_PS3_iiiiiiiiT_S7_S7_S7_.has_recursion, 0
	.set _ZN2at6native12_GLOBAL__N_126adaptive_average_pool_nhwcIifEEvPKT0_PS3_iiiiiiiiT_S7_S7_S7_.has_indirect_call, 0
	.section	.AMDGPU.csdata,"",@progbits
; Kernel info:
; codeLenInByte = 2052
; TotalNumSgprs: 41
; NumVgprs: 28
; ScratchSize: 0
; MemoryBound: 0
; FloatMode: 240
; IeeeMode: 1
; LDSByteSize: 0 bytes/workgroup (compile time only)
; SGPRBlocks: 0
; VGPRBlocks: 1
; NumSGPRsForWavesPerEU: 41
; NumVGPRsForWavesPerEU: 28
; NamedBarCnt: 0
; Occupancy: 16
; WaveLimiterHint : 0
; COMPUTE_PGM_RSRC2:SCRATCH_EN: 0
; COMPUTE_PGM_RSRC2:USER_SGPR: 2
; COMPUTE_PGM_RSRC2:TRAP_HANDLER: 0
; COMPUTE_PGM_RSRC2:TGID_X_EN: 1
; COMPUTE_PGM_RSRC2:TGID_Y_EN: 1
; COMPUTE_PGM_RSRC2:TGID_Z_EN: 1
; COMPUTE_PGM_RSRC2:TIDIG_COMP_CNT: 2
	.section	.text._ZN2at6native12_GLOBAL__N_126adaptive_average_pool_nhwcIiN3c104HalfEEEvPKT0_PS5_iiiiiiiiT_S9_S9_S9_,"axG",@progbits,_ZN2at6native12_GLOBAL__N_126adaptive_average_pool_nhwcIiN3c104HalfEEEvPKT0_PS5_iiiiiiiiT_S9_S9_S9_,comdat
	.globl	_ZN2at6native12_GLOBAL__N_126adaptive_average_pool_nhwcIiN3c104HalfEEEvPKT0_PS5_iiiiiiiiT_S9_S9_S9_ ; -- Begin function _ZN2at6native12_GLOBAL__N_126adaptive_average_pool_nhwcIiN3c104HalfEEEvPKT0_PS5_iiiiiiiiT_S9_S9_S9_
	.p2align	8
	.type	_ZN2at6native12_GLOBAL__N_126adaptive_average_pool_nhwcIiN3c104HalfEEEvPKT0_PS5_iiiiiiiiT_S9_S9_S9_,@function
_ZN2at6native12_GLOBAL__N_126adaptive_average_pool_nhwcIiN3c104HalfEEEvPKT0_PS5_iiiiiiiiT_S9_S9_S9_: ; @_ZN2at6native12_GLOBAL__N_126adaptive_average_pool_nhwcIiN3c104HalfEEEvPKT0_PS5_iiiiiiiiT_S9_S9_S9_
; %bb.0:
	s_clause 0x1
	s_load_b128 s[16:19], s[0:1], 0x44
	s_load_b256 s[4:11], s[0:1], 0x10
	v_bfe_u32 v1, v0, 10, 10
	v_bfe_u32 v3, v0, 20, 10
	s_load_b128 s[12:15], s[0:1], 0x30
	v_and_b32_e32 v0, 0x3ff, v0
	s_mov_b32 s3, exec_lo
	s_wait_kmcnt 0x0
	s_lshr_b32 s22, s18, 16
	s_and_b32 s28, s18, 0xffff
	v_mad_u32_u24 v2, v3, s22, v1
	s_mul_i32 s2, s11, s28
	s_and_b32 s23, s19, 0xffff
	s_mul_i32 s2, s2, s22
	s_delay_alu instid0(SALU_CYCLE_1) | instskip(SKIP_1) | instid1(VALU_DEP_1)
	s_mul_i32 s2, s2, s23
	v_mad_u32 v4, v2, s28, v0
	v_cmpx_gt_u32_e64 s2, v4
	s_cbranch_execz .LBB2_3
; %bb.1:
	s_mul_i32 s18, s22, s28
	v_lshl_add_u32 v5, v4, 2, 0
	v_mov_b32_e32 v6, 0
	s_mul_i32 s18, s18, s23
	s_mov_b32 s19, 0
	s_lshl_b32 s20, s18, 2
.LBB2_2:                                ; =>This Inner Loop Header: Depth=1
	v_add_nc_u32_e32 v4, s18, v4
	ds_store_b32 v5, v6
	v_add_nc_u32_e32 v5, s20, v5
	v_cmp_le_u32_e32 vcc_lo, s2, v4
	s_or_b32 s19, vcc_lo, s19
	s_delay_alu instid0(SALU_CYCLE_1)
	s_and_not1_b32 exec_lo, exec_lo, s19
	s_cbranch_execnz .LBB2_2
.LBB2_3:
	s_or_b32 exec_lo, exec_lo, s3
	s_cvt_f32_u32 s18, s17
	s_sub_co_i32 s19, 0, s17
	s_add_co_i32 s20, s8, -1
	s_load_b128 s[0:3], s[0:1], 0x0
	v_rcp_iflag_f32_e32 v4, s18
	s_add_co_i32 s21, s20, s17
	s_wait_dscnt 0x0
	s_barrier_signal -1
	s_barrier_wait -1
	v_nop
	s_delay_alu instid0(TRANS32_DEP_1) | instskip(SKIP_1) | instid1(SALU_CYCLE_3)
	v_readfirstlane_b32 s18, v4
	s_mul_f32 s18, s18, 0x4f7ffffe
	s_cvt_u32_f32 s18, s18
	s_delay_alu instid0(SALU_CYCLE_3) | instskip(NEXT) | instid1(SALU_CYCLE_1)
	s_mul_i32 s19, s19, s18
	s_mul_hi_u32 s19, s18, s19
	s_delay_alu instid0(SALU_CYCLE_1) | instskip(NEXT) | instid1(SALU_CYCLE_1)
	s_add_co_i32 s18, s18, s19
	s_mul_hi_u32 s18, s21, s18
	s_delay_alu instid0(SALU_CYCLE_1) | instskip(NEXT) | instid1(SALU_CYCLE_1)
	s_mul_i32 s19, s18, s17
	s_sub_co_i32 s19, s21, s19
	s_add_co_i32 s21, s18, 1
	s_sub_co_i32 s24, s19, s17
	s_cmp_ge_u32 s19, s17
	s_cselect_b32 s18, s21, s18
	s_cselect_b32 s19, s24, s19
	s_add_co_i32 s21, s18, 1
	s_cmp_ge_u32 s19, s17
	s_getreg_b32 s17, hwreg(HW_REG_IB_STS2, 6, 4)
	s_cselect_b32 s18, s21, s18
	s_bfe_u32 s21, ttmp6, 0x40014
	s_bfe_u32 s26, ttmp6, 0x40010
	;; [unrolled: 1-line block ×3, first 2 shown]
	s_lshr_b32 s19, ttmp7, 16
	s_and_b32 s25, ttmp7, 0xffff
	s_add_co_i32 s21, s21, 1
	s_add_co_i32 s26, s26, 1
	;; [unrolled: 1-line block ×3, first 2 shown]
	s_bfe_u32 s24, ttmp6, 0x40008
	s_bfe_u32 s27, ttmp6, 0x40004
	s_and_b32 s29, ttmp6, 15
	s_mul_i32 s21, s19, s21
	s_mul_i32 s26, s25, s26
	s_mul_i32 s30, ttmp9, s30
	s_add_co_i32 s24, s24, s21
	s_add_co_i32 s27, s27, s26
	;; [unrolled: 1-line block ×3, first 2 shown]
	s_cmp_eq_u32 s17, 0
	s_cselect_b32 s17, s19, s24
	s_cvt_f32_u32 s19, s4
	v_mad_u32 v8, s18, s17, v3
	s_cvt_f32_u32 s17, s16
	s_delay_alu instid0(SALU_CYCLE_1) | instskip(SKIP_1) | instid1(SALU_CYCLE_1)
	v_rcp_iflag_f32_e32 v3, s19
	s_mov_b32 s19, 0
	v_rcp_iflag_f32_e32 v4, s17
	s_cselect_b32 s17, s25, s27
	s_mov_b32 s25, exec_lo
	s_delay_alu instid0(TRANS32_DEP_2) | instskip(NEXT) | instid1(VALU_DEP_2)
	v_readfirstlane_b32 s24, v3
	v_add_min_i32_e64 v9, v8, s18, s8
	s_delay_alu instid0(TRANS32_DEP_1)
	v_readfirstlane_b32 s21, v4
	s_cselect_b32 s18, ttmp9, s29
	v_cmpx_lt_i32_e64 v8, v9
	s_cbranch_execz .LBB2_21
; %bb.4:
	s_mul_f32 s24, s24, 0x4f7ffffe
	s_sub_co_i32 s26, 0, s4
	s_mul_f32 s21, s21, 0x4f7ffffe
	s_sub_co_i32 s30, 0, s16
	s_cvt_u32_f32 s24, s24
	s_mov_b32 s25, s19
	s_cvt_u32_f32 s21, s21
	s_add_co_i32 s29, s9, -1
	s_mul_i32 s26, s26, s24
	s_mov_b32 s27, s19
	s_mul_hi_u32 s31, s24, s26
	s_mul_i32 s30, s30, s21
	s_add_co_i32 s24, s24, s31
	s_add_co_i32 s26, s29, s16
	s_mul_u64 s[24:25], s[18:19], s[24:25]
	s_mul_hi_u32 s24, s21, s30
	s_mul_i32 s31, s25, s4
	s_add_co_i32 s30, s21, s24
	s_sub_co_i32 s21, s18, s31
	s_add_co_i32 s24, s25, 1
	s_sub_co_i32 s33, s21, s4
	s_cmp_ge_u32 s21, s4
	s_mov_b32 s31, s19
	s_cselect_b32 s24, s24, s25
	s_cselect_b32 s21, s33, s21
	s_add_co_i32 s25, s24, 1
	s_cmp_ge_u32 s21, s4
	s_mul_i32 s21, s8, s5
	s_cselect_b32 s33, s25, s24
	s_mul_i32 s21, s21, s9
	s_mul_i32 s4, s33, s4
	s_mul_u64 s[24:25], s[26:27], s[30:31]
	s_sub_co_i32 s4, s18, s4
	s_mul_i32 s18, s25, s16
	s_mul_i32 s30, s21, s4
	;; [unrolled: 1-line block ×3, first 2 shown]
	s_ashr_i32 s31, s30, 31
	s_ashr_i32 s35, s34, 31
	s_sub_co_i32 s4, s26, s18
	s_lshl_b64 s[30:31], s[30:31], 1
	s_lshl_b64 s[34:35], s[34:35], 1
	s_add_co_i32 s12, s25, 1
	s_sub_co_i32 s18, s4, s16
	s_cmp_ge_u32 s4, s16
	v_mul_lo_u32 v2, s11, v2
	s_cselect_b32 s12, s12, s25
	s_cselect_b32 s4, s18, s4
	s_add_co_i32 s18, s12, 1
	s_cmp_ge_u32 s4, s16
	v_mad_u32 v10, s33, s28, v0
	s_cselect_b32 s18, s18, s12
	s_abs_i32 s4, s8
	s_abs_i32 s12, s9
	s_cvt_f32_u32 s16, s4
	s_cvt_f32_u32 s11, s12
	v_mad_u32 v11, s18, s17, v1
	v_mul_lo_u32 v1, v2, s28
	v_rcp_iflag_f32_e32 v3, s16
	v_rcp_iflag_f32_e32 v4, s11
	s_wait_kmcnt 0x0
	s_add_nc_u64 s[16:17], s[0:1], s[34:35]
	v_mul_lo_u32 v13, s13, v10
	s_mul_i32 s24, s10, s28
	s_add_nc_u64 s[10:11], s[2:3], s[30:31]
	s_sub_co_i32 s2, 0, s4
	v_readfirstlane_b32 s21, v3
	v_readfirstlane_b32 s0, v4
	v_add_min_i32_e64 v12, v11, s18, s9
	v_dual_lshlrev_b32 v1, 2, v1 :: v_dual_lshlrev_b32 v0, 2, v0
	s_mul_f32 s1, s21, 0x4f7ffffe
	s_mul_f32 s0, s0, 0x4f7ffffe
	s_sub_co_i32 s3, 0, s12
	s_ashr_i32 s8, s8, 31
	s_cvt_u32_f32 s1, s1
	s_cvt_u32_f32 s21, s0
	v_cmp_lt_i32_e64 s0, v11, v12
	v_add3_u32 v14, v1, v0, 0
	s_mul_i32 s2, s2, s1
	s_mul_i32 s3, s3, s21
	s_mul_hi_u32 s2, s1, s2
	v_mov_b32_e32 v1, 0
	s_add_co_i32 s18, s1, s2
	s_mul_hi_u32 s1, s21, s3
	s_add_co_i32 s25, s6, s20
	s_ashr_i32 s26, s9, 31
	s_add_co_i32 s20, s21, s1
	s_mov_b32 s21, s19
	s_add_co_i32 s27, s7, s29
	s_mul_i32 s13, s24, s13
	s_lshl_b32 s28, s28, 2
	s_mov_b32 s29, s19
	v_cmp_gt_i32_e32 vcc_lo, s5, v10
	s_branch .LBB2_6
.LBB2_5:                                ;   in Loop: Header=BB2_6 Depth=1
	s_or_b32 exec_lo, exec_lo, s30
	v_add_nc_u32_e32 v8, s23, v8
	s_delay_alu instid0(VALU_DEP_1) | instskip(SKIP_1) | instid1(SALU_CYCLE_1)
	v_cmp_ge_i32_e64 s1, v8, v9
	s_or_b32 s29, s1, s29
	s_and_not1_b32 exec_lo, exec_lo, s29
	s_cbranch_execz .LBB2_21
.LBB2_6:                                ; =>This Loop Header: Depth=1
                                        ;     Child Loop BB2_9 Depth 2
                                        ;       Child Loop BB2_12 Depth 3
                                        ;         Child Loop BB2_15 Depth 4
                                        ;           Child Loop BB2_17 Depth 5
                                        ;       Child Loop BB2_20 Depth 3
	s_and_saveexec_b32 s30, s0
	s_cbranch_execz .LBB2_5
; %bb.7:                                ;   in Loop: Header=BB2_6 Depth=1
	v_mul_lo_u32 v6, v8, s6
	v_mul_lo_u32 v17, v8, s9
	s_mov_b32 s31, 0
	s_delay_alu instid0(VALU_DEP_2) | instskip(NEXT) | instid1(VALU_DEP_1)
	v_dual_mov_b32 v19, v11 :: v_dual_sub_nc_u32 v0, 0, v6
	v_dual_add_nc_u32 v7, s25, v6 :: v_dual_max_i32 v0, v6, v0
	s_delay_alu instid0(VALU_DEP_1) | instskip(NEXT) | instid1(VALU_DEP_2)
	v_sub_nc_u32_e32 v4, 0, v7
	v_mul_u64_e32 v[2:3], s[18:19], v[0:1]
	s_delay_alu instid0(VALU_DEP_1) | instskip(SKIP_1) | instid1(VALU_DEP_1)
	v_dual_ashrrev_i32 v6, 31, v6 :: v_dual_add_nc_u32 v15, 1, v3
	v_mul_lo_u32 v2, v3, s4
	v_dual_sub_nc_u32 v2, v0, v2 :: v_dual_max_i32 v0, v7, v4
	s_delay_alu instid0(VALU_DEP_1) | instskip(NEXT) | instid1(VALU_DEP_2)
	v_cmp_le_u32_e64 s1, s4, v2
	v_mul_u64_e32 v[4:5], s[18:19], v[0:1]
	s_delay_alu instid0(VALU_DEP_2) | instskip(SKIP_1) | instid1(VALU_DEP_3)
	v_cndmask_b32_e64 v3, v3, v15, s1
	v_subrev_nc_u32_e32 v15, s4, v2
	v_mul_lo_u32 v4, v5, s4
	s_delay_alu instid0(VALU_DEP_1) | instskip(SKIP_1) | instid1(VALU_DEP_2)
	v_dual_sub_nc_u32 v0, v0, v4 :: v_dual_bitop2_b32 v6, s8, v6 bitop3:0x14
	v_add_nc_u32_e32 v4, 1, v5
	v_subrev_nc_u32_e32 v16, s4, v0
	v_cmp_le_u32_e64 s2, s4, v0
	s_delay_alu instid0(VALU_DEP_1) | instskip(NEXT) | instid1(VALU_DEP_4)
	v_dual_cndmask_b32 v2, v2, v15, s1 :: v_dual_cndmask_b32 v0, v0, v16, s2
	v_dual_cndmask_b32 v4, v5, v4, s2 :: v_dual_ashrrev_i32 v5, 31, v7
	v_add_nc_u32_e32 v7, 1, v3
	s_delay_alu instid0(VALU_DEP_3) | instskip(NEXT) | instid1(VALU_DEP_3)
	v_cmp_le_u32_e64 s1, s4, v2
	v_dual_add_nc_u32 v15, 1, v4 :: v_dual_bitop2_b32 v5, s8, v5 bitop3:0x14
	s_delay_alu instid0(VALU_DEP_2) | instskip(SKIP_1) | instid1(VALU_DEP_1)
	v_cndmask_b32_e64 v2, v3, v7, s1
	v_cmp_le_u32_e64 s1, s4, v0
	v_dual_cndmask_b32 v0, v4, v15, s1 :: v_dual_bitop2_b32 v2, v2, v6 bitop3:0x14
	s_delay_alu instid0(VALU_DEP_1) | instskip(NEXT) | instid1(VALU_DEP_1)
	v_dual_sub_nc_u32 v15, v2, v6 :: v_dual_bitop2_b32 v0, v0, v5 bitop3:0x14
	v_sub_nc_u32_e32 v16, v0, v5
	s_delay_alu instid0(VALU_DEP_1)
	v_sub_nc_u32_e32 v18, v16, v15
	v_cmp_gt_i32_e64 s1, v16, v15
	s_branch .LBB2_9
.LBB2_8:                                ;   in Loop: Header=BB2_9 Depth=2
	s_or_b32 exec_lo, exec_lo, s3
	v_add_nc_u32_e32 v19, s22, v19
	s_delay_alu instid0(VALU_DEP_1) | instskip(SKIP_1) | instid1(SALU_CYCLE_1)
	v_cmp_ge_i32_e64 s2, v19, v12
	s_or_b32 s31, s2, s31
	s_and_not1_b32 exec_lo, exec_lo, s31
	s_cbranch_execz .LBB2_5
.LBB2_9:                                ;   Parent Loop BB2_6 Depth=1
                                        ; =>  This Loop Header: Depth=2
                                        ;       Child Loop BB2_12 Depth 3
                                        ;         Child Loop BB2_15 Depth 4
                                        ;           Child Loop BB2_17 Depth 5
                                        ;       Child Loop BB2_20 Depth 3
	v_mul_lo_u32 v6, v19, s7
	s_delay_alu instid0(VALU_DEP_1) | instskip(NEXT) | instid1(VALU_DEP_1)
	v_dual_sub_nc_u32 v0, 0, v6 :: v_dual_add_nc_u32 v7, s27, v6
	v_dual_sub_nc_u32 v4, 0, v7 :: v_dual_max_i32 v0, v6, v0
	s_delay_alu instid0(VALU_DEP_1) | instskip(NEXT) | instid1(VALU_DEP_1)
	v_mul_u64_e32 v[2:3], s[20:21], v[0:1]
	v_dual_ashrrev_i32 v6, 31, v6 :: v_dual_add_nc_u32 v20, 1, v3
	v_mul_lo_u32 v2, v3, s12
	s_delay_alu instid0(VALU_DEP_1) | instskip(NEXT) | instid1(VALU_DEP_1)
	v_dual_sub_nc_u32 v2, v0, v2 :: v_dual_max_i32 v0, v7, v4
	v_cmp_le_u32_e64 s2, s12, v2
	s_delay_alu instid0(VALU_DEP_2) | instskip(NEXT) | instid1(VALU_DEP_2)
	v_mul_u64_e32 v[4:5], s[20:21], v[0:1]
	v_cndmask_b32_e64 v3, v3, v20, s2
	v_subrev_nc_u32_e32 v20, s12, v2
	s_delay_alu instid0(VALU_DEP_1) | instskip(NEXT) | instid1(VALU_DEP_4)
	v_cndmask_b32_e64 v2, v2, v20, s2
	v_mul_lo_u32 v4, v5, s12
	s_delay_alu instid0(VALU_DEP_1) | instskip(SKIP_1) | instid1(VALU_DEP_2)
	v_dual_sub_nc_u32 v0, v0, v4 :: v_dual_bitop2_b32 v6, s26, v6 bitop3:0x14
	v_add_nc_u32_e32 v4, 1, v5
	v_subrev_nc_u32_e32 v21, s12, v0
	v_cmp_le_u32_e64 s3, s12, v0
	s_delay_alu instid0(VALU_DEP_1) | instskip(NEXT) | instid1(VALU_DEP_3)
	v_dual_cndmask_b32 v4, v5, v4, s3 :: v_dual_ashrrev_i32 v5, 31, v7
	v_dual_add_nc_u32 v7, 1, v3 :: v_dual_cndmask_b32 v0, v0, v21, s3
	v_cmp_le_u32_e64 s2, s12, v2
	s_delay_alu instid0(VALU_DEP_3) | instskip(NEXT) | instid1(VALU_DEP_2)
	v_dual_add_nc_u32 v20, 1, v4 :: v_dual_bitop2_b32 v5, s26, v5 bitop3:0x14
	v_cndmask_b32_e64 v2, v3, v7, s2
	s_delay_alu instid0(VALU_DEP_4) | instskip(NEXT) | instid1(VALU_DEP_1)
	v_cmp_le_u32_e64 s2, s12, v0
	v_dual_cndmask_b32 v0, v4, v20, s2 :: v_dual_bitop2_b32 v2, v2, v6 bitop3:0x14
	s_delay_alu instid0(VALU_DEP_1) | instskip(NEXT) | instid1(VALU_DEP_1)
	v_dual_sub_nc_u32 v0, v2, v6 :: v_dual_bitop2_b32 v3, v0, v5 bitop3:0x14
	v_sub_nc_u32_e32 v20, v3, v5
	s_and_saveexec_b32 s33, s1
	s_cbranch_execz .LBB2_18
; %bb.10:                               ;   in Loop: Header=BB2_9 Depth=2
	s_delay_alu instid0(VALU_DEP_1)
	v_cmp_gt_i32_e64 s2, v20, v0
	v_mov_b32_e32 v21, v15
	s_mov_b32 s34, 0
	s_branch .LBB2_12
.LBB2_11:                               ;   in Loop: Header=BB2_12 Depth=3
	s_or_b32 exec_lo, exec_lo, s35
	v_add_nc_u32_e32 v21, 1, v21
	s_delay_alu instid0(VALU_DEP_1) | instskip(SKIP_1) | instid1(SALU_CYCLE_1)
	v_cmp_ge_i32_e64 s3, v21, v16
	s_or_b32 s34, s3, s34
	s_and_not1_b32 exec_lo, exec_lo, s34
	s_cbranch_execz .LBB2_18
.LBB2_12:                               ;   Parent Loop BB2_6 Depth=1
                                        ;     Parent Loop BB2_9 Depth=2
                                        ; =>    This Loop Header: Depth=3
                                        ;         Child Loop BB2_15 Depth 4
                                        ;           Child Loop BB2_17 Depth 5
	s_and_saveexec_b32 s35, s2
	s_cbranch_execz .LBB2_11
; %bb.13:                               ;   in Loop: Header=BB2_12 Depth=3
	v_mul_lo_u32 v2, v21, s14
	s_mov_b32 s36, 0
	s_delay_alu instid0(VALU_DEP_1) | instskip(NEXT) | instid1(VALU_DEP_1)
	v_dual_mov_b32 v22, v0 :: v_dual_ashrrev_i32 v3, 31, v2
	v_lshl_add_u64 v[2:3], v[2:3], 1, s[16:17]
	s_branch .LBB2_15
.LBB2_14:                               ;   in Loop: Header=BB2_15 Depth=4
	s_or_b32 exec_lo, exec_lo, s37
	v_add_nc_u32_e32 v22, 1, v22
	s_delay_alu instid0(VALU_DEP_1) | instskip(SKIP_1) | instid1(SALU_CYCLE_1)
	v_cmp_ge_i32_e64 s3, v22, v20
	s_or_b32 s36, s3, s36
	s_and_not1_b32 exec_lo, exec_lo, s36
	s_cbranch_execz .LBB2_11
.LBB2_15:                               ;   Parent Loop BB2_6 Depth=1
                                        ;     Parent Loop BB2_9 Depth=2
                                        ;       Parent Loop BB2_12 Depth=3
                                        ; =>      This Loop Header: Depth=4
                                        ;           Child Loop BB2_17 Depth 5
	s_and_saveexec_b32 s37, vcc_lo
	s_cbranch_execz .LBB2_14
; %bb.16:                               ;   in Loop: Header=BB2_15 Depth=4
	v_mul_lo_u32 v6, v22, s15
	v_dual_mov_b32 v4, v13 :: v_dual_mov_b32 v24, v10
	s_mov_b32 s38, 0
	s_delay_alu instid0(VALU_DEP_2) | instskip(NEXT) | instid1(VALU_DEP_1)
	v_dual_mov_b32 v23, v14 :: v_dual_ashrrev_i32 v7, 31, v6
	v_lshl_add_u64 v[6:7], v[6:7], 1, v[2:3]
.LBB2_17:                               ;   Parent Loop BB2_6 Depth=1
                                        ;     Parent Loop BB2_9 Depth=2
                                        ;       Parent Loop BB2_12 Depth=3
                                        ;         Parent Loop BB2_15 Depth=4
                                        ; =>        This Inner Loop Header: Depth=5
	s_delay_alu instid0(VALU_DEP_3)
	v_ashrrev_i32_e32 v5, 31, v4
	ds_load_b32 v25, v23
	v_lshl_add_u64 v[26:27], v[4:5], 1, v[6:7]
	v_add_nc_u32_e32 v4, s13, v4
	global_load_u16 v5, v[26:27], off
	s_wait_loadcnt 0x0
	v_cvt_f32_f16_e32 v5, v5
	s_wait_dscnt 0x0
	s_delay_alu instid0(VALU_DEP_1) | instskip(NEXT) | instid1(VALU_DEP_1)
	v_dual_add_f32 v5, v25, v5 :: v_dual_add_nc_u32 v24, s24, v24
	v_cmp_le_i32_e64 s3, s5, v24
	ds_store_b32 v23, v5
	v_add_nc_u32_e32 v23, s28, v23
	s_or_b32 s38, s3, s38
	s_wait_xcnt 0x0
	s_and_not1_b32 exec_lo, exec_lo, s38
	s_cbranch_execnz .LBB2_17
	s_branch .LBB2_14
.LBB2_18:                               ;   in Loop: Header=BB2_9 Depth=2
	s_or_b32 exec_lo, exec_lo, s33
	s_and_saveexec_b32 s3, vcc_lo
	s_cbranch_execz .LBB2_8
; %bb.19:                               ;   in Loop: Header=BB2_9 Depth=2
	v_dual_sub_nc_u32 v0, v20, v0 :: v_dual_add_nc_u32 v2, v19, v17
	s_mov_b32 s33, 0
	s_delay_alu instid0(VALU_DEP_1) | instskip(NEXT) | instid1(VALU_DEP_2)
	v_mul_lo_u32 v0, v0, v18
	v_mul_lo_u32 v2, v2, s5
	s_delay_alu instid0(VALU_DEP_2) | instskip(NEXT) | instid1(VALU_DEP_2)
	v_cvt_f32_i32_e32 v0, v0
	v_ashrrev_i32_e32 v3, 31, v2
	s_delay_alu instid0(VALU_DEP_2) | instskip(NEXT) | instid1(VALU_DEP_1)
	v_cvt_f16_f32_e32 v0, v0
	v_rcp_f16_e32 v4, v0
	v_nop
	v_mov_b32_e32 v0, v14
	v_lshl_add_u64 v[2:3], v[2:3], 1, s[10:11]
	s_delay_alu instid0(TRANS32_DEP_1)
	v_cvt_f32_f16_e32 v6, v4
	v_mov_b32_e32 v4, v10
.LBB2_20:                               ;   Parent Loop BB2_6 Depth=1
                                        ;     Parent Loop BB2_9 Depth=2
                                        ; =>    This Inner Loop Header: Depth=3
	ds_load_b32 v7, v0
	v_ashrrev_i32_e32 v5, 31, v4
	ds_store_b32 v0, v1
	v_add_nc_u32_e32 v0, s28, v0
	v_lshl_add_u64 v[20:21], v[4:5], 1, v[2:3]
	v_add_nc_u32_e32 v4, s24, v4
	s_delay_alu instid0(VALU_DEP_1)
	v_cmp_le_i32_e64 s2, s5, v4
	s_or_b32 s33, s2, s33
	s_wait_dscnt 0x1
	v_fma_mixlo_f16 v5, v7, v6, 0
	global_store_b16 v[20:21], v5, off
	s_wait_xcnt 0x0
	s_and_not1_b32 exec_lo, exec_lo, s33
	s_cbranch_execnz .LBB2_20
	s_branch .LBB2_8
.LBB2_21:
	s_endpgm
	.section	.rodata,"a",@progbits
	.p2align	6, 0x0
	.amdhsa_kernel _ZN2at6native12_GLOBAL__N_126adaptive_average_pool_nhwcIiN3c104HalfEEEvPKT0_PS5_iiiiiiiiT_S9_S9_S9_
		.amdhsa_group_segment_fixed_size 0
		.amdhsa_private_segment_fixed_size 0
		.amdhsa_kernarg_size 320
		.amdhsa_user_sgpr_count 2
		.amdhsa_user_sgpr_dispatch_ptr 0
		.amdhsa_user_sgpr_queue_ptr 0
		.amdhsa_user_sgpr_kernarg_segment_ptr 1
		.amdhsa_user_sgpr_dispatch_id 0
		.amdhsa_user_sgpr_kernarg_preload_length 0
		.amdhsa_user_sgpr_kernarg_preload_offset 0
		.amdhsa_user_sgpr_private_segment_size 0
		.amdhsa_wavefront_size32 1
		.amdhsa_uses_dynamic_stack 0
		.amdhsa_enable_private_segment 0
		.amdhsa_system_sgpr_workgroup_id_x 1
		.amdhsa_system_sgpr_workgroup_id_y 1
		.amdhsa_system_sgpr_workgroup_id_z 1
		.amdhsa_system_sgpr_workgroup_info 0
		.amdhsa_system_vgpr_workitem_id 2
		.amdhsa_next_free_vgpr 28
		.amdhsa_next_free_sgpr 39
		.amdhsa_named_barrier_count 0
		.amdhsa_reserve_vcc 1
		.amdhsa_float_round_mode_32 0
		.amdhsa_float_round_mode_16_64 0
		.amdhsa_float_denorm_mode_32 3
		.amdhsa_float_denorm_mode_16_64 3
		.amdhsa_fp16_overflow 0
		.amdhsa_memory_ordered 1
		.amdhsa_forward_progress 1
		.amdhsa_inst_pref_size 17
		.amdhsa_round_robin_scheduling 0
		.amdhsa_exception_fp_ieee_invalid_op 0
		.amdhsa_exception_fp_denorm_src 0
		.amdhsa_exception_fp_ieee_div_zero 0
		.amdhsa_exception_fp_ieee_overflow 0
		.amdhsa_exception_fp_ieee_underflow 0
		.amdhsa_exception_fp_ieee_inexact 0
		.amdhsa_exception_int_div_zero 0
	.end_amdhsa_kernel
	.section	.text._ZN2at6native12_GLOBAL__N_126adaptive_average_pool_nhwcIiN3c104HalfEEEvPKT0_PS5_iiiiiiiiT_S9_S9_S9_,"axG",@progbits,_ZN2at6native12_GLOBAL__N_126adaptive_average_pool_nhwcIiN3c104HalfEEEvPKT0_PS5_iiiiiiiiT_S9_S9_S9_,comdat
.Lfunc_end2:
	.size	_ZN2at6native12_GLOBAL__N_126adaptive_average_pool_nhwcIiN3c104HalfEEEvPKT0_PS5_iiiiiiiiT_S9_S9_S9_, .Lfunc_end2-_ZN2at6native12_GLOBAL__N_126adaptive_average_pool_nhwcIiN3c104HalfEEEvPKT0_PS5_iiiiiiiiT_S9_S9_S9_
                                        ; -- End function
	.set _ZN2at6native12_GLOBAL__N_126adaptive_average_pool_nhwcIiN3c104HalfEEEvPKT0_PS5_iiiiiiiiT_S9_S9_S9_.num_vgpr, 28
	.set _ZN2at6native12_GLOBAL__N_126adaptive_average_pool_nhwcIiN3c104HalfEEEvPKT0_PS5_iiiiiiiiT_S9_S9_S9_.num_agpr, 0
	.set _ZN2at6native12_GLOBAL__N_126adaptive_average_pool_nhwcIiN3c104HalfEEEvPKT0_PS5_iiiiiiiiT_S9_S9_S9_.numbered_sgpr, 39
	.set _ZN2at6native12_GLOBAL__N_126adaptive_average_pool_nhwcIiN3c104HalfEEEvPKT0_PS5_iiiiiiiiT_S9_S9_S9_.num_named_barrier, 0
	.set _ZN2at6native12_GLOBAL__N_126adaptive_average_pool_nhwcIiN3c104HalfEEEvPKT0_PS5_iiiiiiiiT_S9_S9_S9_.private_seg_size, 0
	.set _ZN2at6native12_GLOBAL__N_126adaptive_average_pool_nhwcIiN3c104HalfEEEvPKT0_PS5_iiiiiiiiT_S9_S9_S9_.uses_vcc, 1
	.set _ZN2at6native12_GLOBAL__N_126adaptive_average_pool_nhwcIiN3c104HalfEEEvPKT0_PS5_iiiiiiiiT_S9_S9_S9_.uses_flat_scratch, 0
	.set _ZN2at6native12_GLOBAL__N_126adaptive_average_pool_nhwcIiN3c104HalfEEEvPKT0_PS5_iiiiiiiiT_S9_S9_S9_.has_dyn_sized_stack, 0
	.set _ZN2at6native12_GLOBAL__N_126adaptive_average_pool_nhwcIiN3c104HalfEEEvPKT0_PS5_iiiiiiiiT_S9_S9_S9_.has_recursion, 0
	.set _ZN2at6native12_GLOBAL__N_126adaptive_average_pool_nhwcIiN3c104HalfEEEvPKT0_PS5_iiiiiiiiT_S9_S9_S9_.has_indirect_call, 0
	.section	.AMDGPU.csdata,"",@progbits
; Kernel info:
; codeLenInByte = 2060
; TotalNumSgprs: 41
; NumVgprs: 28
; ScratchSize: 0
; MemoryBound: 0
; FloatMode: 240
; IeeeMode: 1
; LDSByteSize: 0 bytes/workgroup (compile time only)
; SGPRBlocks: 0
; VGPRBlocks: 1
; NumSGPRsForWavesPerEU: 41
; NumVGPRsForWavesPerEU: 28
; NamedBarCnt: 0
; Occupancy: 16
; WaveLimiterHint : 0
; COMPUTE_PGM_RSRC2:SCRATCH_EN: 0
; COMPUTE_PGM_RSRC2:USER_SGPR: 2
; COMPUTE_PGM_RSRC2:TRAP_HANDLER: 0
; COMPUTE_PGM_RSRC2:TGID_X_EN: 1
; COMPUTE_PGM_RSRC2:TGID_Y_EN: 1
; COMPUTE_PGM_RSRC2:TGID_Z_EN: 1
; COMPUTE_PGM_RSRC2:TIDIG_COMP_CNT: 2
	.section	.text._ZN2at6native12_GLOBAL__N_126adaptive_average_pool_nhwcIiN3c108BFloat16EEEvPKT0_PS5_iiiiiiiiT_S9_S9_S9_,"axG",@progbits,_ZN2at6native12_GLOBAL__N_126adaptive_average_pool_nhwcIiN3c108BFloat16EEEvPKT0_PS5_iiiiiiiiT_S9_S9_S9_,comdat
	.globl	_ZN2at6native12_GLOBAL__N_126adaptive_average_pool_nhwcIiN3c108BFloat16EEEvPKT0_PS5_iiiiiiiiT_S9_S9_S9_ ; -- Begin function _ZN2at6native12_GLOBAL__N_126adaptive_average_pool_nhwcIiN3c108BFloat16EEEvPKT0_PS5_iiiiiiiiT_S9_S9_S9_
	.p2align	8
	.type	_ZN2at6native12_GLOBAL__N_126adaptive_average_pool_nhwcIiN3c108BFloat16EEEvPKT0_PS5_iiiiiiiiT_S9_S9_S9_,@function
_ZN2at6native12_GLOBAL__N_126adaptive_average_pool_nhwcIiN3c108BFloat16EEEvPKT0_PS5_iiiiiiiiT_S9_S9_S9_: ; @_ZN2at6native12_GLOBAL__N_126adaptive_average_pool_nhwcIiN3c108BFloat16EEEvPKT0_PS5_iiiiiiiiT_S9_S9_S9_
; %bb.0:
	s_clause 0x1
	s_load_b128 s[16:19], s[0:1], 0x44
	s_load_b256 s[4:11], s[0:1], 0x10
	v_bfe_u32 v1, v0, 10, 10
	v_bfe_u32 v3, v0, 20, 10
	s_load_b128 s[12:15], s[0:1], 0x30
	v_and_b32_e32 v0, 0x3ff, v0
	s_mov_b32 s3, exec_lo
	s_wait_kmcnt 0x0
	s_lshr_b32 s22, s18, 16
	s_and_b32 s28, s18, 0xffff
	v_mad_u32_u24 v2, v3, s22, v1
	s_mul_i32 s2, s11, s28
	s_and_b32 s23, s19, 0xffff
	s_mul_i32 s2, s2, s22
	s_delay_alu instid0(SALU_CYCLE_1) | instskip(SKIP_1) | instid1(VALU_DEP_1)
	s_mul_i32 s2, s2, s23
	v_mad_u32 v4, v2, s28, v0
	v_cmpx_gt_u32_e64 s2, v4
	s_cbranch_execz .LBB3_3
; %bb.1:
	s_mul_i32 s18, s22, s28
	v_lshl_add_u32 v5, v4, 2, 0
	v_mov_b32_e32 v6, 0
	s_mul_i32 s18, s18, s23
	s_mov_b32 s19, 0
	s_lshl_b32 s20, s18, 2
.LBB3_2:                                ; =>This Inner Loop Header: Depth=1
	v_add_nc_u32_e32 v4, s18, v4
	ds_store_b32 v5, v6
	v_add_nc_u32_e32 v5, s20, v5
	v_cmp_le_u32_e32 vcc_lo, s2, v4
	s_or_b32 s19, vcc_lo, s19
	s_delay_alu instid0(SALU_CYCLE_1)
	s_and_not1_b32 exec_lo, exec_lo, s19
	s_cbranch_execnz .LBB3_2
.LBB3_3:
	s_or_b32 exec_lo, exec_lo, s3
	s_cvt_f32_u32 s18, s17
	s_sub_co_i32 s19, 0, s17
	s_add_co_i32 s20, s8, -1
	s_load_b128 s[0:3], s[0:1], 0x0
	v_rcp_iflag_f32_e32 v4, s18
	s_add_co_i32 s21, s20, s17
	s_wait_dscnt 0x0
	s_barrier_signal -1
	s_barrier_wait -1
	v_nop
	s_delay_alu instid0(TRANS32_DEP_1) | instskip(SKIP_1) | instid1(SALU_CYCLE_3)
	v_readfirstlane_b32 s18, v4
	s_mul_f32 s18, s18, 0x4f7ffffe
	s_cvt_u32_f32 s18, s18
	s_delay_alu instid0(SALU_CYCLE_3) | instskip(NEXT) | instid1(SALU_CYCLE_1)
	s_mul_i32 s19, s19, s18
	s_mul_hi_u32 s19, s18, s19
	s_delay_alu instid0(SALU_CYCLE_1) | instskip(NEXT) | instid1(SALU_CYCLE_1)
	s_add_co_i32 s18, s18, s19
	s_mul_hi_u32 s18, s21, s18
	s_delay_alu instid0(SALU_CYCLE_1) | instskip(NEXT) | instid1(SALU_CYCLE_1)
	s_mul_i32 s19, s18, s17
	s_sub_co_i32 s19, s21, s19
	s_add_co_i32 s21, s18, 1
	s_sub_co_i32 s24, s19, s17
	s_cmp_ge_u32 s19, s17
	s_cselect_b32 s18, s21, s18
	s_cselect_b32 s19, s24, s19
	s_add_co_i32 s21, s18, 1
	s_cmp_ge_u32 s19, s17
	s_getreg_b32 s17, hwreg(HW_REG_IB_STS2, 6, 4)
	s_cselect_b32 s18, s21, s18
	s_bfe_u32 s21, ttmp6, 0x40014
	s_bfe_u32 s26, ttmp6, 0x40010
	;; [unrolled: 1-line block ×3, first 2 shown]
	s_lshr_b32 s19, ttmp7, 16
	s_and_b32 s25, ttmp7, 0xffff
	s_add_co_i32 s21, s21, 1
	s_add_co_i32 s26, s26, 1
	;; [unrolled: 1-line block ×3, first 2 shown]
	s_bfe_u32 s24, ttmp6, 0x40008
	s_bfe_u32 s27, ttmp6, 0x40004
	s_and_b32 s29, ttmp6, 15
	s_mul_i32 s21, s19, s21
	s_mul_i32 s26, s25, s26
	s_mul_i32 s30, ttmp9, s30
	s_add_co_i32 s24, s24, s21
	s_add_co_i32 s27, s27, s26
	;; [unrolled: 1-line block ×3, first 2 shown]
	s_cmp_eq_u32 s17, 0
	s_cselect_b32 s17, s19, s24
	s_cvt_f32_u32 s19, s4
	v_mad_u32 v8, s18, s17, v3
	s_cvt_f32_u32 s17, s16
	s_delay_alu instid0(SALU_CYCLE_1) | instskip(SKIP_1) | instid1(SALU_CYCLE_1)
	v_rcp_iflag_f32_e32 v3, s19
	s_mov_b32 s19, 0
	v_rcp_iflag_f32_e32 v4, s17
	s_cselect_b32 s17, s25, s27
	s_mov_b32 s25, exec_lo
	s_delay_alu instid0(TRANS32_DEP_2) | instskip(NEXT) | instid1(VALU_DEP_2)
	v_readfirstlane_b32 s24, v3
	v_add_min_i32_e64 v9, v8, s18, s8
	s_delay_alu instid0(TRANS32_DEP_1)
	v_readfirstlane_b32 s21, v4
	s_cselect_b32 s18, ttmp9, s29
	v_cmpx_lt_i32_e64 v8, v9
	s_cbranch_execz .LBB3_21
; %bb.4:
	s_mul_f32 s24, s24, 0x4f7ffffe
	s_sub_co_i32 s26, 0, s4
	s_mul_f32 s21, s21, 0x4f7ffffe
	s_sub_co_i32 s30, 0, s16
	s_cvt_u32_f32 s24, s24
	s_mov_b32 s25, s19
	s_cvt_u32_f32 s21, s21
	s_add_co_i32 s29, s9, -1
	s_mul_i32 s26, s26, s24
	s_mov_b32 s27, s19
	s_mul_hi_u32 s31, s24, s26
	s_mul_i32 s30, s30, s21
	s_add_co_i32 s24, s24, s31
	s_add_co_i32 s26, s29, s16
	s_mul_u64 s[24:25], s[18:19], s[24:25]
	s_mul_hi_u32 s24, s21, s30
	s_mul_i32 s31, s25, s4
	s_add_co_i32 s30, s21, s24
	s_sub_co_i32 s21, s18, s31
	s_add_co_i32 s24, s25, 1
	s_sub_co_i32 s33, s21, s4
	s_cmp_ge_u32 s21, s4
	s_mov_b32 s31, s19
	s_cselect_b32 s24, s24, s25
	s_cselect_b32 s21, s33, s21
	s_add_co_i32 s25, s24, 1
	s_cmp_ge_u32 s21, s4
	s_mul_i32 s21, s8, s5
	s_cselect_b32 s33, s25, s24
	s_mul_i32 s21, s21, s9
	s_mul_i32 s4, s33, s4
	s_mul_u64 s[24:25], s[26:27], s[30:31]
	s_sub_co_i32 s4, s18, s4
	s_mul_i32 s18, s25, s16
	s_mul_i32 s30, s21, s4
	;; [unrolled: 1-line block ×3, first 2 shown]
	s_ashr_i32 s31, s30, 31
	s_ashr_i32 s35, s34, 31
	s_sub_co_i32 s4, s26, s18
	s_lshl_b64 s[30:31], s[30:31], 1
	s_lshl_b64 s[34:35], s[34:35], 1
	s_add_co_i32 s12, s25, 1
	s_sub_co_i32 s18, s4, s16
	s_cmp_ge_u32 s4, s16
	v_mul_lo_u32 v2, s11, v2
	s_cselect_b32 s12, s12, s25
	s_cselect_b32 s4, s18, s4
	s_add_co_i32 s18, s12, 1
	s_cmp_ge_u32 s4, s16
	v_mad_u32 v10, s33, s28, v0
	s_cselect_b32 s18, s18, s12
	s_abs_i32 s4, s8
	s_abs_i32 s12, s9
	s_cvt_f32_u32 s16, s4
	s_cvt_f32_u32 s11, s12
	v_mad_u32 v11, s18, s17, v1
	v_mul_lo_u32 v1, v2, s28
	v_rcp_iflag_f32_e32 v3, s16
	v_rcp_iflag_f32_e32 v4, s11
	s_wait_kmcnt 0x0
	s_add_nc_u64 s[16:17], s[0:1], s[34:35]
	s_mul_i32 s24, s10, s28
	s_add_nc_u64 s[10:11], s[2:3], s[30:31]
	v_mul_lo_u32 v13, s13, v10
	s_sub_co_i32 s3, 0, s4
	v_readfirstlane_b32 s21, v3
	v_readfirstlane_b32 s1, v4
	v_add_min_i32_e64 v12, v11, s18, s9
	v_dual_lshlrev_b32 v1, 2, v1 :: v_dual_lshlrev_b32 v0, 2, v0
	s_mul_f32 s2, s21, 0x4f7ffffe
	s_mul_f32 s1, s1, 0x4f7ffffe
	s_sub_co_i32 s21, 0, s12
	v_cmp_gt_i32_e64 s0, s5, v10
	s_cvt_u32_f32 s2, s2
	s_cvt_u32_f32 s27, s1
	v_cmp_lt_i32_e64 s1, v11, v12
	v_add3_u32 v14, v1, v0, 0
	s_mul_i32 s3, s3, s2
	s_mul_i32 s21, s21, s27
	s_mul_hi_u32 s3, s2, s3
	v_mov_b32_e32 v1, 0
	s_add_co_i32 s18, s2, s3
	s_mul_hi_u32 s2, s27, s21
	s_ashr_i32 s8, s8, 31
	s_add_co_i32 s25, s6, s20
	s_ashr_i32 s26, s9, 31
	s_add_co_i32 s20, s27, s2
	s_mov_b32 s21, s19
	s_add_co_i32 s27, s7, s29
	s_mul_i32 s13, s24, s13
	s_lshl_b32 s28, s28, 2
	s_mov_b32 s29, s19
	s_branch .LBB3_6
.LBB3_5:                                ;   in Loop: Header=BB3_6 Depth=1
	s_or_b32 exec_lo, exec_lo, s30
	v_add_nc_u32_e32 v8, s23, v8
	s_delay_alu instid0(VALU_DEP_1) | instskip(SKIP_1) | instid1(SALU_CYCLE_1)
	v_cmp_ge_i32_e32 vcc_lo, v8, v9
	s_or_b32 s29, vcc_lo, s29
	s_and_not1_b32 exec_lo, exec_lo, s29
	s_cbranch_execz .LBB3_21
.LBB3_6:                                ; =>This Loop Header: Depth=1
                                        ;     Child Loop BB3_9 Depth 2
                                        ;       Child Loop BB3_12 Depth 3
                                        ;         Child Loop BB3_15 Depth 4
                                        ;           Child Loop BB3_17 Depth 5
                                        ;       Child Loop BB3_20 Depth 3
	s_and_saveexec_b32 s30, s1
	s_cbranch_execz .LBB3_5
; %bb.7:                                ;   in Loop: Header=BB3_6 Depth=1
	v_mul_lo_u32 v6, v8, s6
	v_mul_lo_u32 v17, v8, s9
	s_mov_b32 s31, 0
	s_delay_alu instid0(VALU_DEP_2) | instskip(NEXT) | instid1(VALU_DEP_1)
	v_dual_mov_b32 v19, v11 :: v_dual_sub_nc_u32 v0, 0, v6
	v_dual_add_nc_u32 v7, s25, v6 :: v_dual_max_i32 v0, v6, v0
	s_delay_alu instid0(VALU_DEP_1) | instskip(NEXT) | instid1(VALU_DEP_2)
	v_sub_nc_u32_e32 v4, 0, v7
	v_mul_u64_e32 v[2:3], s[18:19], v[0:1]
	s_delay_alu instid0(VALU_DEP_1) | instskip(SKIP_1) | instid1(VALU_DEP_1)
	v_dual_ashrrev_i32 v6, 31, v6 :: v_dual_add_nc_u32 v15, 1, v3
	v_mul_lo_u32 v2, v3, s4
	v_dual_sub_nc_u32 v2, v0, v2 :: v_dual_max_i32 v0, v7, v4
	s_delay_alu instid0(VALU_DEP_1) | instskip(NEXT) | instid1(VALU_DEP_2)
	v_cmp_le_u32_e32 vcc_lo, s4, v2
	v_mul_u64_e32 v[4:5], s[18:19], v[0:1]
	v_cndmask_b32_e32 v3, v3, v15, vcc_lo
	v_subrev_nc_u32_e32 v15, s4, v2
	s_delay_alu instid0(VALU_DEP_3) | instskip(NEXT) | instid1(VALU_DEP_1)
	v_mul_lo_u32 v4, v5, s4
	v_dual_sub_nc_u32 v0, v0, v4 :: v_dual_bitop2_b32 v6, s8, v6 bitop3:0x14
	v_add_nc_u32_e32 v4, 1, v5
	s_delay_alu instid0(VALU_DEP_2) | instskip(SKIP_1) | instid1(VALU_DEP_1)
	v_subrev_nc_u32_e32 v16, s4, v0
	v_cmp_le_u32_e64 s2, s4, v0
	v_dual_cndmask_b32 v2, v2, v15, vcc_lo :: v_dual_cndmask_b32 v0, v0, v16, s2
	s_delay_alu instid0(VALU_DEP_4) | instskip(SKIP_1) | instid1(VALU_DEP_3)
	v_dual_cndmask_b32 v4, v5, v4, s2 :: v_dual_ashrrev_i32 v5, 31, v7
	v_add_nc_u32_e32 v7, 1, v3
	v_cmp_le_u32_e32 vcc_lo, s4, v2
	s_delay_alu instid0(VALU_DEP_3) | instskip(NEXT) | instid1(VALU_DEP_3)
	v_dual_add_nc_u32 v15, 1, v4 :: v_dual_bitop2_b32 v5, s8, v5 bitop3:0x14
	v_cndmask_b32_e32 v2, v3, v7, vcc_lo
	v_cmp_le_u32_e32 vcc_lo, s4, v0
	s_delay_alu instid0(VALU_DEP_2) | instskip(NEXT) | instid1(VALU_DEP_1)
	v_dual_cndmask_b32 v0, v4, v15, vcc_lo :: v_dual_bitop2_b32 v2, v2, v6 bitop3:0x14
	v_dual_sub_nc_u32 v15, v2, v6 :: v_dual_bitop2_b32 v0, v0, v5 bitop3:0x14
	s_delay_alu instid0(VALU_DEP_1) | instskip(NEXT) | instid1(VALU_DEP_1)
	v_sub_nc_u32_e32 v16, v0, v5
	v_sub_nc_u32_e32 v18, v16, v15
	v_cmp_gt_i32_e64 s2, v16, v15
	s_branch .LBB3_9
.LBB3_8:                                ;   in Loop: Header=BB3_9 Depth=2
	s_or_b32 exec_lo, exec_lo, s33
	v_add_nc_u32_e32 v19, s22, v19
	s_delay_alu instid0(VALU_DEP_1) | instskip(SKIP_1) | instid1(SALU_CYCLE_1)
	v_cmp_ge_i32_e32 vcc_lo, v19, v12
	s_or_b32 s31, vcc_lo, s31
	s_and_not1_b32 exec_lo, exec_lo, s31
	s_cbranch_execz .LBB3_5
.LBB3_9:                                ;   Parent Loop BB3_6 Depth=1
                                        ; =>  This Loop Header: Depth=2
                                        ;       Child Loop BB3_12 Depth 3
                                        ;         Child Loop BB3_15 Depth 4
                                        ;           Child Loop BB3_17 Depth 5
                                        ;       Child Loop BB3_20 Depth 3
	v_mul_lo_u32 v6, v19, s7
	s_delay_alu instid0(VALU_DEP_1) | instskip(NEXT) | instid1(VALU_DEP_1)
	v_dual_sub_nc_u32 v0, 0, v6 :: v_dual_add_nc_u32 v7, s27, v6
	v_dual_sub_nc_u32 v4, 0, v7 :: v_dual_max_i32 v0, v6, v0
	s_delay_alu instid0(VALU_DEP_1) | instskip(NEXT) | instid1(VALU_DEP_1)
	v_mul_u64_e32 v[2:3], s[20:21], v[0:1]
	v_dual_ashrrev_i32 v6, 31, v6 :: v_dual_add_nc_u32 v20, 1, v3
	v_mul_lo_u32 v2, v3, s12
	s_delay_alu instid0(VALU_DEP_1) | instskip(NEXT) | instid1(VALU_DEP_1)
	v_dual_sub_nc_u32 v2, v0, v2 :: v_dual_max_i32 v0, v7, v4
	v_cmp_le_u32_e32 vcc_lo, s12, v2
	s_delay_alu instid0(VALU_DEP_2) | instskip(SKIP_2) | instid1(VALU_DEP_1)
	v_mul_u64_e32 v[4:5], s[20:21], v[0:1]
	v_cndmask_b32_e32 v3, v3, v20, vcc_lo
	v_subrev_nc_u32_e32 v20, s12, v2
	v_cndmask_b32_e32 v2, v2, v20, vcc_lo
	s_delay_alu instid0(VALU_DEP_4) | instskip(NEXT) | instid1(VALU_DEP_1)
	v_mul_lo_u32 v4, v5, s12
	v_dual_sub_nc_u32 v0, v0, v4 :: v_dual_bitop2_b32 v6, s26, v6 bitop3:0x14
	v_add_nc_u32_e32 v4, 1, v5
	s_delay_alu instid0(VALU_DEP_2) | instskip(SKIP_1) | instid1(VALU_DEP_1)
	v_subrev_nc_u32_e32 v21, s12, v0
	v_cmp_le_u32_e64 s3, s12, v0
	v_dual_cndmask_b32 v4, v5, v4, s3 :: v_dual_ashrrev_i32 v5, 31, v7
	s_delay_alu instid0(VALU_DEP_3) | instskip(SKIP_1) | instid1(VALU_DEP_3)
	v_dual_add_nc_u32 v7, 1, v3 :: v_dual_cndmask_b32 v0, v0, v21, s3
	v_cmp_le_u32_e32 vcc_lo, s12, v2
	v_dual_add_nc_u32 v20, 1, v4 :: v_dual_bitop2_b32 v5, s26, v5 bitop3:0x14
	s_delay_alu instid0(VALU_DEP_3) | instskip(NEXT) | instid1(VALU_DEP_4)
	v_cndmask_b32_e32 v2, v3, v7, vcc_lo
	v_cmp_le_u32_e32 vcc_lo, s12, v0
	s_delay_alu instid0(VALU_DEP_2) | instskip(NEXT) | instid1(VALU_DEP_1)
	v_dual_cndmask_b32 v0, v4, v20, vcc_lo :: v_dual_bitop2_b32 v2, v2, v6 bitop3:0x14
	v_dual_sub_nc_u32 v0, v2, v6 :: v_dual_bitop2_b32 v3, v0, v5 bitop3:0x14
	s_delay_alu instid0(VALU_DEP_1)
	v_sub_nc_u32_e32 v20, v3, v5
	s_and_saveexec_b32 s33, s2
	s_cbranch_execz .LBB3_18
; %bb.10:                               ;   in Loop: Header=BB3_9 Depth=2
	v_mov_b32_e32 v21, v15
	s_mov_b32 s34, 0
	v_cmp_gt_i32_e32 vcc_lo, v20, v0
	s_branch .LBB3_12
.LBB3_11:                               ;   in Loop: Header=BB3_12 Depth=3
	s_or_b32 exec_lo, exec_lo, s35
	v_add_nc_u32_e32 v21, 1, v21
	s_delay_alu instid0(VALU_DEP_1) | instskip(SKIP_1) | instid1(SALU_CYCLE_1)
	v_cmp_ge_i32_e64 s3, v21, v16
	s_or_b32 s34, s3, s34
	s_and_not1_b32 exec_lo, exec_lo, s34
	s_cbranch_execz .LBB3_18
.LBB3_12:                               ;   Parent Loop BB3_6 Depth=1
                                        ;     Parent Loop BB3_9 Depth=2
                                        ; =>    This Loop Header: Depth=3
                                        ;         Child Loop BB3_15 Depth 4
                                        ;           Child Loop BB3_17 Depth 5
	s_and_saveexec_b32 s35, vcc_lo
	s_cbranch_execz .LBB3_11
; %bb.13:                               ;   in Loop: Header=BB3_12 Depth=3
	v_mul_lo_u32 v2, v21, s14
	s_mov_b32 s36, 0
	s_delay_alu instid0(VALU_DEP_1) | instskip(NEXT) | instid1(VALU_DEP_1)
	v_dual_mov_b32 v22, v0 :: v_dual_ashrrev_i32 v3, 31, v2
	v_lshl_add_u64 v[2:3], v[2:3], 1, s[16:17]
	s_branch .LBB3_15
.LBB3_14:                               ;   in Loop: Header=BB3_15 Depth=4
	s_or_b32 exec_lo, exec_lo, s37
	v_add_nc_u32_e32 v22, 1, v22
	s_delay_alu instid0(VALU_DEP_1) | instskip(SKIP_1) | instid1(SALU_CYCLE_1)
	v_cmp_ge_i32_e64 s3, v22, v20
	s_or_b32 s36, s3, s36
	s_and_not1_b32 exec_lo, exec_lo, s36
	s_cbranch_execz .LBB3_11
.LBB3_15:                               ;   Parent Loop BB3_6 Depth=1
                                        ;     Parent Loop BB3_9 Depth=2
                                        ;       Parent Loop BB3_12 Depth=3
                                        ; =>      This Loop Header: Depth=4
                                        ;           Child Loop BB3_17 Depth 5
	s_and_saveexec_b32 s37, s0
	s_cbranch_execz .LBB3_14
; %bb.16:                               ;   in Loop: Header=BB3_15 Depth=4
	v_mul_lo_u32 v6, v22, s15
	v_dual_mov_b32 v4, v13 :: v_dual_mov_b32 v24, v10
	s_mov_b32 s38, 0
	s_delay_alu instid0(VALU_DEP_2) | instskip(NEXT) | instid1(VALU_DEP_1)
	v_dual_mov_b32 v23, v14 :: v_dual_ashrrev_i32 v7, 31, v6
	v_lshl_add_u64 v[6:7], v[6:7], 1, v[2:3]
.LBB3_17:                               ;   Parent Loop BB3_6 Depth=1
                                        ;     Parent Loop BB3_9 Depth=2
                                        ;       Parent Loop BB3_12 Depth=3
                                        ;         Parent Loop BB3_15 Depth=4
                                        ; =>        This Inner Loop Header: Depth=5
	s_delay_alu instid0(VALU_DEP_3) | instskip(SKIP_4) | instid1(VALU_DEP_3)
	v_ashrrev_i32_e32 v5, 31, v4
	ds_load_b32 v25, v23
	v_add_nc_u32_e32 v24, s24, v24
	v_lshl_add_u64 v[26:27], v[4:5], 1, v[6:7]
	v_add_nc_u32_e32 v4, s13, v4
	v_cmp_le_i32_e64 s3, s5, v24
	global_load_u16 v5, v[26:27], off
	s_or_b32 s38, s3, s38
	s_wait_loadcnt 0x0
	v_lshlrev_b32_e32 v5, 16, v5
	s_wait_dscnt 0x0
	s_delay_alu instid0(VALU_DEP_1)
	v_add_f32_e32 v5, v25, v5
	ds_store_b32 v23, v5
	v_add_nc_u32_e32 v23, s28, v23
	s_wait_xcnt 0x0
	s_and_not1_b32 exec_lo, exec_lo, s38
	s_cbranch_execnz .LBB3_17
	s_branch .LBB3_14
.LBB3_18:                               ;   in Loop: Header=BB3_9 Depth=2
	s_or_b32 exec_lo, exec_lo, s33
	s_and_saveexec_b32 s33, s0
	s_cbranch_execz .LBB3_8
; %bb.19:                               ;   in Loop: Header=BB3_9 Depth=2
	v_sub_nc_u32_e32 v0, v20, v0
	s_mov_b32 s34, 0
	s_delay_alu instid0(VALU_DEP_1) | instskip(NEXT) | instid1(VALU_DEP_1)
	v_mul_lo_u32 v0, v0, v18
	v_cvt_f32_i32_e32 v0, v0
	s_delay_alu instid0(VALU_DEP_1) | instskip(NEXT) | instid1(VALU_DEP_1)
	v_bfe_u32 v2, v0, 16, 1
	v_add3_u32 v0, v0, v2, 0x7fff
	s_delay_alu instid0(VALU_DEP_1) | instskip(NEXT) | instid1(VALU_DEP_1)
	v_and_b32_e32 v0, 0xffff0000, v0
	v_div_scale_f32 v2, null, v0, v0, 1.0
	v_div_scale_f32 v5, vcc_lo, 1.0, v0, 1.0
	s_delay_alu instid0(VALU_DEP_2) | instskip(SKIP_1) | instid1(TRANS32_DEP_1)
	v_rcp_f32_e32 v3, v2
	v_nop
	v_fma_f32 v4, -v2, v3, 1.0
	s_delay_alu instid0(VALU_DEP_1) | instskip(NEXT) | instid1(VALU_DEP_1)
	v_fmac_f32_e32 v3, v4, v3
	v_mul_f32_e32 v4, v5, v3
	s_delay_alu instid0(VALU_DEP_1) | instskip(NEXT) | instid1(VALU_DEP_1)
	v_fma_f32 v6, -v2, v4, v5
	v_fmac_f32_e32 v4, v6, v3
	s_delay_alu instid0(VALU_DEP_1) | instskip(NEXT) | instid1(VALU_DEP_1)
	v_fma_f32 v2, -v2, v4, v5
	v_div_fmas_f32 v2, v2, v3, v4
	v_add_nc_u32_e32 v3, v19, v17
	s_delay_alu instid0(VALU_DEP_2) | instskip(NEXT) | instid1(VALU_DEP_2)
	v_div_fixup_f32 v4, v2, v0, 1.0
	v_mul_lo_u32 v2, v3, s5
	s_delay_alu instid0(VALU_DEP_2) | instskip(SKIP_1) | instid1(VALU_DEP_2)
	v_bfe_u32 v0, v4, 16, 1
	v_cmp_o_f32_e32 vcc_lo, v4, v4
	v_add3_u32 v0, v4, v0, 0x7fff
	s_delay_alu instid0(VALU_DEP_4) | instskip(NEXT) | instid1(VALU_DEP_2)
	v_dual_mov_b32 v4, v10 :: v_dual_ashrrev_i32 v3, 31, v2
	v_and_b32_e32 v5, 0xffff0000, v0
	v_mov_b32_e32 v0, v14
	s_delay_alu instid0(VALU_DEP_3) | instskip(NEXT) | instid1(VALU_DEP_3)
	v_lshl_add_u64 v[2:3], v[2:3], 1, s[10:11]
	v_cndmask_b32_e32 v6, 0x7fc00000, v5, vcc_lo
.LBB3_20:                               ;   Parent Loop BB3_6 Depth=1
                                        ;     Parent Loop BB3_9 Depth=2
                                        ; =>    This Inner Loop Header: Depth=3
	ds_load_b32 v5, v0
	ds_store_b32 v0, v1
	s_wait_dscnt 0x1
	v_dual_mul_f32 v7, v6, v5 :: v_dual_add_nc_u32 v0, s28, v0
	v_ashrrev_i32_e32 v5, 31, v4
	s_delay_alu instid0(VALU_DEP_2) | instskip(SKIP_1) | instid1(VALU_DEP_2)
	v_bfe_u32 v20, v7, 16, 1
	v_cmp_o_f32_e64 s3, v7, v7
	v_add3_u32 v22, v7, v20, 0x7fff
	s_delay_alu instid0(VALU_DEP_4) | instskip(NEXT) | instid1(VALU_DEP_2)
	v_lshl_add_u64 v[20:21], v[4:5], 1, v[2:3]
	v_dual_add_nc_u32 v4, s24, v4 :: v_dual_lshrrev_b32 v5, 16, v22
	s_delay_alu instid0(VALU_DEP_1) | instskip(NEXT) | instid1(VALU_DEP_2)
	v_cmp_le_i32_e32 vcc_lo, s5, v4
	v_cndmask_b32_e64 v5, 0x7fc0, v5, s3
	s_or_b32 s34, vcc_lo, s34
	global_store_b16 v[20:21], v5, off
	s_wait_xcnt 0x0
	s_and_not1_b32 exec_lo, exec_lo, s34
	s_cbranch_execnz .LBB3_20
	s_branch .LBB3_8
.LBB3_21:
	s_endpgm
	.section	.rodata,"a",@progbits
	.p2align	6, 0x0
	.amdhsa_kernel _ZN2at6native12_GLOBAL__N_126adaptive_average_pool_nhwcIiN3c108BFloat16EEEvPKT0_PS5_iiiiiiiiT_S9_S9_S9_
		.amdhsa_group_segment_fixed_size 0
		.amdhsa_private_segment_fixed_size 0
		.amdhsa_kernarg_size 320
		.amdhsa_user_sgpr_count 2
		.amdhsa_user_sgpr_dispatch_ptr 0
		.amdhsa_user_sgpr_queue_ptr 0
		.amdhsa_user_sgpr_kernarg_segment_ptr 1
		.amdhsa_user_sgpr_dispatch_id 0
		.amdhsa_user_sgpr_kernarg_preload_length 0
		.amdhsa_user_sgpr_kernarg_preload_offset 0
		.amdhsa_user_sgpr_private_segment_size 0
		.amdhsa_wavefront_size32 1
		.amdhsa_uses_dynamic_stack 0
		.amdhsa_enable_private_segment 0
		.amdhsa_system_sgpr_workgroup_id_x 1
		.amdhsa_system_sgpr_workgroup_id_y 1
		.amdhsa_system_sgpr_workgroup_id_z 1
		.amdhsa_system_sgpr_workgroup_info 0
		.amdhsa_system_vgpr_workitem_id 2
		.amdhsa_next_free_vgpr 28
		.amdhsa_next_free_sgpr 39
		.amdhsa_named_barrier_count 0
		.amdhsa_reserve_vcc 1
		.amdhsa_float_round_mode_32 0
		.amdhsa_float_round_mode_16_64 0
		.amdhsa_float_denorm_mode_32 3
		.amdhsa_float_denorm_mode_16_64 3
		.amdhsa_fp16_overflow 0
		.amdhsa_memory_ordered 1
		.amdhsa_forward_progress 1
		.amdhsa_inst_pref_size 18
		.amdhsa_round_robin_scheduling 0
		.amdhsa_exception_fp_ieee_invalid_op 0
		.amdhsa_exception_fp_denorm_src 0
		.amdhsa_exception_fp_ieee_div_zero 0
		.amdhsa_exception_fp_ieee_overflow 0
		.amdhsa_exception_fp_ieee_underflow 0
		.amdhsa_exception_fp_ieee_inexact 0
		.amdhsa_exception_int_div_zero 0
	.end_amdhsa_kernel
	.section	.text._ZN2at6native12_GLOBAL__N_126adaptive_average_pool_nhwcIiN3c108BFloat16EEEvPKT0_PS5_iiiiiiiiT_S9_S9_S9_,"axG",@progbits,_ZN2at6native12_GLOBAL__N_126adaptive_average_pool_nhwcIiN3c108BFloat16EEEvPKT0_PS5_iiiiiiiiT_S9_S9_S9_,comdat
.Lfunc_end3:
	.size	_ZN2at6native12_GLOBAL__N_126adaptive_average_pool_nhwcIiN3c108BFloat16EEEvPKT0_PS5_iiiiiiiiT_S9_S9_S9_, .Lfunc_end3-_ZN2at6native12_GLOBAL__N_126adaptive_average_pool_nhwcIiN3c108BFloat16EEEvPKT0_PS5_iiiiiiiiT_S9_S9_S9_
                                        ; -- End function
	.set _ZN2at6native12_GLOBAL__N_126adaptive_average_pool_nhwcIiN3c108BFloat16EEEvPKT0_PS5_iiiiiiiiT_S9_S9_S9_.num_vgpr, 28
	.set _ZN2at6native12_GLOBAL__N_126adaptive_average_pool_nhwcIiN3c108BFloat16EEEvPKT0_PS5_iiiiiiiiT_S9_S9_S9_.num_agpr, 0
	.set _ZN2at6native12_GLOBAL__N_126adaptive_average_pool_nhwcIiN3c108BFloat16EEEvPKT0_PS5_iiiiiiiiT_S9_S9_S9_.numbered_sgpr, 39
	.set _ZN2at6native12_GLOBAL__N_126adaptive_average_pool_nhwcIiN3c108BFloat16EEEvPKT0_PS5_iiiiiiiiT_S9_S9_S9_.num_named_barrier, 0
	.set _ZN2at6native12_GLOBAL__N_126adaptive_average_pool_nhwcIiN3c108BFloat16EEEvPKT0_PS5_iiiiiiiiT_S9_S9_S9_.private_seg_size, 0
	.set _ZN2at6native12_GLOBAL__N_126adaptive_average_pool_nhwcIiN3c108BFloat16EEEvPKT0_PS5_iiiiiiiiT_S9_S9_S9_.uses_vcc, 1
	.set _ZN2at6native12_GLOBAL__N_126adaptive_average_pool_nhwcIiN3c108BFloat16EEEvPKT0_PS5_iiiiiiiiT_S9_S9_S9_.uses_flat_scratch, 0
	.set _ZN2at6native12_GLOBAL__N_126adaptive_average_pool_nhwcIiN3c108BFloat16EEEvPKT0_PS5_iiiiiiiiT_S9_S9_S9_.has_dyn_sized_stack, 0
	.set _ZN2at6native12_GLOBAL__N_126adaptive_average_pool_nhwcIiN3c108BFloat16EEEvPKT0_PS5_iiiiiiiiT_S9_S9_S9_.has_recursion, 0
	.set _ZN2at6native12_GLOBAL__N_126adaptive_average_pool_nhwcIiN3c108BFloat16EEEvPKT0_PS5_iiiiiiiiT_S9_S9_S9_.has_indirect_call, 0
	.section	.AMDGPU.csdata,"",@progbits
; Kernel info:
; codeLenInByte = 2200
; TotalNumSgprs: 41
; NumVgprs: 28
; ScratchSize: 0
; MemoryBound: 0
; FloatMode: 240
; IeeeMode: 1
; LDSByteSize: 0 bytes/workgroup (compile time only)
; SGPRBlocks: 0
; VGPRBlocks: 1
; NumSGPRsForWavesPerEU: 41
; NumVGPRsForWavesPerEU: 28
; NamedBarCnt: 0
; Occupancy: 16
; WaveLimiterHint : 0
; COMPUTE_PGM_RSRC2:SCRATCH_EN: 0
; COMPUTE_PGM_RSRC2:USER_SGPR: 2
; COMPUTE_PGM_RSRC2:TRAP_HANDLER: 0
; COMPUTE_PGM_RSRC2:TGID_X_EN: 1
; COMPUTE_PGM_RSRC2:TGID_Y_EN: 1
; COMPUTE_PGM_RSRC2:TGID_Z_EN: 1
; COMPUTE_PGM_RSRC2:TIDIG_COMP_CNT: 2
	.section	.text._ZN2at6native12_GLOBAL__N_121adaptive_average_poolIdEEvPKT_PS3_iiiilll,"axG",@progbits,_ZN2at6native12_GLOBAL__N_121adaptive_average_poolIdEEvPKT_PS3_iiiilll,comdat
	.globl	_ZN2at6native12_GLOBAL__N_121adaptive_average_poolIdEEvPKT_PS3_iiiilll ; -- Begin function _ZN2at6native12_GLOBAL__N_121adaptive_average_poolIdEEvPKT_PS3_iiiilll
	.p2align	8
	.type	_ZN2at6native12_GLOBAL__N_121adaptive_average_poolIdEEvPKT_PS3_iiiilll,@function
_ZN2at6native12_GLOBAL__N_121adaptive_average_poolIdEEvPKT_PS3_iiiilll: ; @_ZN2at6native12_GLOBAL__N_121adaptive_average_poolIdEEvPKT_PS3_iiiilll
; %bb.0:
	s_clause 0x1
	s_load_b32 s2, s[0:1], 0x44
	s_load_b128 s[4:7], s[0:1], 0x10
	s_bfe_u32 s3, ttmp6, 0x40010
	s_bfe_u32 s8, ttmp6, 0x40004
	s_add_co_i32 s3, s3, 1
	s_getreg_b32 s16, hwreg(HW_REG_IB_STS2, 6, 4)
	s_mul_i32 s3, ttmp7, s3
	v_bfe_u32 v1, v0, 10, 10
	s_add_co_i32 s8, s8, s3
	s_wait_kmcnt 0x0
	s_lshr_b32 s17, s2, 16
	s_cmp_eq_u32 s16, 0
	s_cselect_b32 s3, ttmp7, s8
	s_mov_b32 s8, exec_lo
	v_mad_u32 v14, s3, s17, v1
	s_mov_b32 s3, 0
	s_delay_alu instid0(VALU_DEP_1)
	v_cmpx_gt_i32_e64 s6, v14
	s_cbranch_execz .LBB4_22
; %bb.1:
	s_load_b128 s[8:11], s[0:1], 0x0
	s_bfe_u32 s14, ttmp6, 0x4000c
	s_and_b32 s18, ttmp6, 15
	s_add_co_i32 s14, s14, 1
	s_add_nc_u64 s[12:13], s[0:1], 56
	s_mul_i32 s19, ttmp9, s14
	s_load_b32 s34, s[12:13], 0x4
	s_add_co_i32 s18, s18, s19
	s_cmp_eq_u32 s16, 0
	s_mov_b32 s16, s6
	s_cselect_b32 s22, ttmp9, s18
	v_cvt_f32_u32_e32 v1, s16
	s_wait_xcnt 0x0
	s_clause 0x1
	s_load_b128 s[12:15], s[0:1], 0x20
	s_load_b64 s[24:25], s[0:1], 0x30
	s_wait_xcnt 0x0
	s_mul_i32 s0, s6, s22
	s_abs_i32 s33, s6
	s_mul_i32 s0, s0, s7
	v_rcp_iflag_f32_e32 v1, v1
	s_cvt_f32_u32 s18, s33
	s_ashr_i32 s1, s0, 31
	s_abs_i32 s35, s7
	s_lshl_b64 s[0:1], s[0:1], 3
	v_rcp_iflag_f32_e32 v2, s18
	s_wait_kmcnt 0x0
	s_add_nc_u64 s[10:11], s[10:11], s[0:1]
	s_cvt_f32_u32 s0, s35
	v_mul_f32_e32 v1, 0x4f7ffffe, v1
	v_and_b32_e32 v15, 0x3ff, v0
	s_sub_co_i32 s18, 0, s6
	v_rcp_iflag_f32_e32 v0, s0
	v_readfirstlane_b32 s1, v2
	v_cvt_u32_f32_e32 v2, v1
	s_and_b32 s36, s2, 0xffff
	s_ashr_i32 s23, s22, 31
	v_cmp_gt_i32_e64 s0, s7, v15
	s_mul_f32 s1, s1, 0x4f7ffffe
	v_readfirstlane_b32 s2, v0
	v_mul_lo_u32 v0, s18, v2
	s_sub_co_i32 s18, 0, s33
	s_cvt_u32_f32 s1, s1
	s_mul_u64 s[22:23], s[12:13], s[22:23]
	s_mul_f32 s2, s2, 0x4f7ffffe
	v_mov_b32_e32 v1, 0
	s_mul_i32 s20, s18, s1
	s_mul_i32 s34, s34, s17
	s_mul_hi_u32 s20, s1, s20
	s_cvt_u32_f32 s2, s2
	s_add_co_i32 s20, s1, s20
	v_mul_hi_u32 v0, v2, v0
	s_sub_co_i32 s1, 0, s35
	s_ashr_i32 s17, s6, 31
	s_mul_i32 s1, s1, s2
	s_lshl_b64 s[22:23], s[22:23], 3
	s_mul_hi_u32 s1, s2, s1
	s_ashr_i32 s37, s5, 31
	s_mov_b32 s38, s5
	s_ashr_i32 s19, s7, 31
	s_mov_b32 s18, s7
	s_mov_b32 s21, s3
	v_add_nc_u32_e32 v16, v2, v0
	s_add_co_i32 s12, s2, s1
	s_mov_b32 s13, s3
	s_add_nc_u64 s[8:9], s[8:9], s[22:23]
	s_lshl_b64 s[14:15], s[14:15], 3
	s_mov_b64 s[22:23], 0xffffffff
	s_lshl_b64 s[24:25], s[24:25], 3
	s_ashr_i32 s26, s17, 31
	s_mov_b32 s39, 0
	s_branch .LBB4_3
.LBB4_2:                                ;   in Loop: Header=BB4_3 Depth=1
	s_or_b32 exec_lo, exec_lo, s27
	v_add_nc_u32_e32 v14, s34, v14
	s_delay_alu instid0(VALU_DEP_1) | instskip(SKIP_1) | instid1(SALU_CYCLE_1)
	v_cmp_le_i32_e32 vcc_lo, s6, v14
	s_or_b32 s39, vcc_lo, s39
	s_and_not1_b32 exec_lo, exec_lo, s39
	s_cbranch_execz .LBB4_22
.LBB4_3:                                ; =>This Loop Header: Depth=1
                                        ;     Child Loop BB4_11 Depth 2
                                        ;       Child Loop BB4_18 Depth 3
                                        ;         Child Loop BB4_20 Depth 4
	v_dual_add_nc_u32 v0, 1, v14 :: v_dual_mov_b32 v4, v1
	s_delay_alu instid0(VALU_DEP_1) | instskip(NEXT) | instid1(VALU_DEP_1)
	v_mad_nc_i64_i32 v[2:3], v0, s4, -1
	v_or_b32_e32 v5, s17, v3
	s_delay_alu instid0(VALU_DEP_1) | instskip(SKIP_1) | instid1(SALU_CYCLE_1)
	v_cmp_ne_u64_e32 vcc_lo, 0, v[4:5]
                                        ; implicit-def: $vgpr4_vgpr5
	s_and_saveexec_b32 s1, vcc_lo
	s_xor_b32 s30, exec_lo, s1
	s_cbranch_execnz .LBB4_6
; %bb.4:                                ;   in Loop: Header=BB4_3 Depth=1
	s_and_not1_saveexec_b32 s1, s30
	s_cbranch_execnz .LBB4_7
.LBB4_5:                                ;   in Loop: Header=BB4_3 Depth=1
	s_or_b32 exec_lo, exec_lo, s1
	s_and_saveexec_b32 s27, s0
	s_cbranch_execz .LBB4_2
	s_branch .LBB4_8
.LBB4_6:                                ;   in Loop: Header=BB4_3 Depth=1
	s_mov_b32 s27, s26
	v_dual_mov_b32 v9, v1 :: v_dual_ashrrev_i32 v4, 31, v3
	s_add_nc_u64 s[28:29], s[16:17], s[26:27]
	v_mov_b32_e32 v13, v1
	s_xor_b64 s[28:29], s[28:29], s[26:27]
	s_delay_alu instid0(VALU_DEP_2) | instskip(SKIP_3) | instid1(VALU_DEP_1)
	v_mov_b32_e32 v5, v4
	s_cvt_f32_u32 s1, s28
	s_cvt_f32_u32 s2, s29
	s_sub_nc_u64 s[42:43], 0, s[28:29]
	v_add_nc_u64_e32 v[2:3], v[2:3], v[4:5]
	s_delay_alu instid0(SALU_CYCLE_1) | instskip(NEXT) | instid1(SALU_CYCLE_3)
	s_fmamk_f32 s1, s2, 0x4f800000, s1
	v_s_rcp_f32 s1, s1
	s_delay_alu instid0(VALU_DEP_1) | instskip(NEXT) | instid1(VALU_DEP_2)
	v_xor_b32_e32 v0, v2, v4
	v_xor_b32_e32 v8, v3, v4
	;; [unrolled: 1-line block ×3, first 2 shown]
	s_delay_alu instid0(TRANS32_DEP_1) | instskip(NEXT) | instid1(SALU_CYCLE_3)
	s_mul_f32 s1, s1, 0x5f7ffffc
	s_mul_f32 s2, s1, 0x2f800000
	s_delay_alu instid0(SALU_CYCLE_3) | instskip(NEXT) | instid1(SALU_CYCLE_3)
	s_trunc_f32 s2, s2
	s_fmamk_f32 s1, s2, 0xcf800000, s1
	s_cvt_u32_f32 s41, s2
	s_delay_alu instid0(SALU_CYCLE_2) | instskip(NEXT) | instid1(SALU_CYCLE_3)
	s_cvt_u32_f32 s40, s1
	s_mul_u64 s[44:45], s[42:43], s[40:41]
	s_delay_alu instid0(SALU_CYCLE_1)
	s_mul_hi_u32 s47, s40, s45
	s_mul_i32 s46, s40, s45
	s_mul_hi_u32 s2, s40, s44
	s_mul_i32 s27, s41, s44
	s_add_nc_u64 s[46:47], s[2:3], s[46:47]
	s_mul_hi_u32 s1, s41, s44
	s_mul_hi_u32 s31, s41, s45
	s_add_co_u32 s2, s46, s27
	s_add_co_ci_u32 s2, s47, s1
	s_mul_i32 s44, s41, s45
	s_add_co_ci_u32 s45, s31, 0
	s_delay_alu instid0(SALU_CYCLE_1) | instskip(NEXT) | instid1(SALU_CYCLE_1)
	s_add_nc_u64 s[44:45], s[2:3], s[44:45]
	s_add_co_u32 s40, s40, s44
	s_cselect_b32 s1, -1, 0
	s_delay_alu instid0(SALU_CYCLE_1) | instskip(SKIP_1) | instid1(SALU_CYCLE_1)
	s_cmp_lg_u32 s1, 0
	s_add_co_ci_u32 s41, s41, s45
	s_mul_u64 s[42:43], s[42:43], s[40:41]
	s_delay_alu instid0(SALU_CYCLE_1)
	s_mul_hi_u32 s45, s40, s43
	s_mul_i32 s44, s40, s43
	s_mul_hi_u32 s2, s40, s42
	s_mul_i32 s27, s41, s42
	s_add_nc_u64 s[44:45], s[2:3], s[44:45]
	s_mul_hi_u32 s1, s41, s42
	s_mul_hi_u32 s31, s41, s43
	s_add_co_u32 s2, s44, s27
	s_add_co_ci_u32 s2, s45, s1
	s_mul_i32 s42, s41, s43
	s_add_co_ci_u32 s43, s31, 0
	s_delay_alu instid0(SALU_CYCLE_1) | instskip(NEXT) | instid1(SALU_CYCLE_1)
	s_add_nc_u64 s[42:43], s[2:3], s[42:43]
	s_add_co_u32 s40, s40, s42
	s_cselect_b32 s1, -1, 0
	v_mul_hi_u32 v12, v0, s40
	s_cmp_lg_u32 s1, 0
	s_add_co_ci_u32 s2, s41, s43
	s_and_b64 s[42:43], s[40:41], s[22:23]
	v_mul_u64_e32 v[6:7], s[2:3], v[0:1]
	v_mul_u64_e32 v[2:3], s[42:43], v[8:9]
	;; [unrolled: 1-line block ×3, first 2 shown]
	s_delay_alu instid0(VALU_DEP_3) | instskip(NEXT) | instid1(VALU_DEP_1)
	v_add_nc_u64_e32 v[6:7], v[12:13], v[6:7]
	v_add_co_u32 v2, vcc_lo, v6, v2
	s_delay_alu instid0(VALU_DEP_2) | instskip(NEXT) | instid1(VALU_DEP_4)
	v_add_co_ci_u32_e32 v12, vcc_lo, v7, v3, vcc_lo
	v_add_co_ci_u32_e32 v11, vcc_lo, 0, v11, vcc_lo
	s_delay_alu instid0(VALU_DEP_1) | instskip(NEXT) | instid1(VALU_DEP_1)
	v_add_nc_u64_e32 v[2:3], v[12:13], v[10:11]
	v_mul_u64_e32 v[6:7], s[28:29], v[2:3]
	s_delay_alu instid0(VALU_DEP_1) | instskip(NEXT) | instid1(VALU_DEP_2)
	v_sub_nc_u32_e32 v5, v8, v7
	v_sub_co_u32 v0, vcc_lo, v0, v6
	s_delay_alu instid0(VALU_DEP_1) | instskip(NEXT) | instid1(VALU_DEP_3)
	v_sub_co_ci_u32_e64 v10, null, v8, v7, vcc_lo
	v_subrev_co_ci_u32_e64 v5, null, s29, v5, vcc_lo
	s_delay_alu instid0(VALU_DEP_3) | instskip(SKIP_1) | instid1(VALU_DEP_3)
	v_sub_co_u32 v6, s1, v0, s28
	v_add_nc_u64_e32 v[8:9], 1, v[2:3]
	v_subrev_co_ci_u32_e64 v5, null, 0, v5, s1
	s_delay_alu instid0(VALU_DEP_3) | instskip(SKIP_1) | instid1(VALU_DEP_3)
	v_cmp_le_u32_e32 vcc_lo, s28, v6
	v_cndmask_b32_e64 v6, 0, -1, vcc_lo
	v_cmp_le_u32_e32 vcc_lo, s29, v5
	v_cndmask_b32_e64 v7, 0, -1, vcc_lo
	v_cmp_le_u32_e32 vcc_lo, s28, v0
	v_cndmask_b32_e64 v0, 0, -1, vcc_lo
	v_cmp_le_u32_e32 vcc_lo, s29, v10
	v_cndmask_b32_e64 v11, 0, -1, vcc_lo
	v_cmp_eq_u32_e32 vcc_lo, s29, v5
	v_cndmask_b32_e32 v5, v7, v6, vcc_lo
	v_cmp_eq_u32_e32 vcc_lo, s29, v10
	v_add_nc_u64_e32 v[6:7], 2, v[2:3]
	v_cndmask_b32_e32 v0, v11, v0, vcc_lo
	s_delay_alu instid0(VALU_DEP_4) | instskip(NEXT) | instid1(VALU_DEP_2)
	v_cmp_ne_u32_e32 vcc_lo, 0, v5
	v_cmp_ne_u32_e64 s1, 0, v0
	s_delay_alu instid0(VALU_DEP_4) | instskip(NEXT) | instid1(VALU_DEP_1)
	v_dual_cndmask_b32 v5, v9, v7 :: v_dual_cndmask_b32 v0, v8, v6
	v_dual_cndmask_b32 v3, v3, v5, s1 :: v_dual_cndmask_b32 v0, v2, v0, s1
	s_delay_alu instid0(VALU_DEP_1) | instskip(NEXT) | instid1(VALU_DEP_2)
	v_dual_mov_b32 v5, v4 :: v_dual_bitop2_b32 v3, v3, v4 bitop3:0x14
	v_xor_b32_e32 v2, v0, v4
	s_delay_alu instid0(VALU_DEP_1)
	v_sub_nc_u64_e32 v[4:5], v[2:3], v[4:5]
                                        ; implicit-def: $vgpr2_vgpr3
	s_and_not1_saveexec_b32 s1, s30
	s_cbranch_execz .LBB4_5
.LBB4_7:                                ;   in Loop: Header=BB4_3 Depth=1
	s_delay_alu instid0(VALU_DEP_3) | instskip(NEXT) | instid1(VALU_DEP_1)
	v_mul_hi_u32 v0, v2, v16
	v_mul_lo_u32 v3, v0, s16
	s_delay_alu instid0(VALU_DEP_1) | instskip(NEXT) | instid1(VALU_DEP_1)
	v_dual_sub_nc_u32 v2, v2, v3 :: v_dual_add_nc_u32 v3, 1, v0
	v_subrev_nc_u32_e32 v4, s16, v2
	v_cmp_le_u32_e32 vcc_lo, s16, v2
	s_delay_alu instid0(VALU_DEP_2) | instskip(NEXT) | instid1(VALU_DEP_1)
	v_dual_cndmask_b32 v2, v2, v4, vcc_lo :: v_dual_cndmask_b32 v0, v0, v3, vcc_lo
	v_cmp_le_u32_e32 vcc_lo, s16, v2
	s_delay_alu instid0(VALU_DEP_2) | instskip(NEXT) | instid1(VALU_DEP_1)
	v_add_nc_u32_e32 v3, 1, v0
	v_cndmask_b32_e32 v4, v0, v3, vcc_lo
	s_or_b32 exec_lo, exec_lo, s1
	s_and_saveexec_b32 s27, s0
	s_cbranch_execz .LBB4_2
.LBB4_8:                                ;   in Loop: Header=BB4_3 Depth=1
	v_sub_nc_u32_e32 v0, 0, v14
	s_mov_b32 s40, 0
	s_delay_alu instid0(VALU_DEP_1) | instskip(NEXT) | instid1(VALU_DEP_1)
	v_max_i32_e32 v0, v14, v0
	v_mul_u64_e32 v[2:3], s[20:21], v[0:1]
	s_delay_alu instid0(VALU_DEP_1) | instskip(NEXT) | instid1(VALU_DEP_1)
	v_mul_lo_u32 v2, v3, s33
	v_dual_sub_nc_u32 v0, v0, v2 :: v_dual_add_nc_u32 v2, 1, v3
	s_delay_alu instid0(VALU_DEP_1) | instskip(SKIP_1) | instid1(VALU_DEP_3)
	v_subrev_nc_u32_e32 v5, s33, v0
	v_cmp_le_u32_e32 vcc_lo, s33, v0
	v_cndmask_b32_e32 v2, v3, v2, vcc_lo
	s_delay_alu instid0(VALU_DEP_3) | instskip(NEXT) | instid1(VALU_DEP_2)
	v_dual_cndmask_b32 v0, v0, v5 :: v_dual_ashrrev_i32 v3, 31, v14
	v_add_nc_u32_e32 v5, 1, v2
	s_delay_alu instid0(VALU_DEP_2) | instskip(NEXT) | instid1(VALU_DEP_2)
	v_cmp_le_u32_e32 vcc_lo, s33, v0
	v_dual_cndmask_b32 v0, v2, v5, vcc_lo :: v_dual_bitop2_b32 v3, s17, v3 bitop3:0x14
	s_delay_alu instid0(VALU_DEP_1) | instskip(NEXT) | instid1(VALU_DEP_1)
	v_xor_b32_e32 v0, v0, v3
	v_sub_nc_u32_e32 v5, v0, v3
	s_delay_alu instid0(VALU_DEP_1) | instskip(NEXT) | instid1(VALU_DEP_1)
	v_mul_lo_u32 v0, v5, s6
	v_sub_nc_u32_e32 v0, v14, v0
	s_delay_alu instid0(VALU_DEP_1) | instskip(NEXT) | instid1(VALU_DEP_1)
	v_mul_lo_u32 v6, v0, s4
	v_sub_nc_u32_e32 v0, 0, v6
	s_delay_alu instid0(VALU_DEP_1) | instskip(NEXT) | instid1(VALU_DEP_1)
	v_max_i32_e32 v0, v6, v0
	v_mul_u64_e32 v[2:3], s[20:21], v[0:1]
	s_delay_alu instid0(VALU_DEP_1) | instskip(NEXT) | instid1(VALU_DEP_1)
	v_mul_lo_u32 v2, v3, s33
	v_dual_sub_nc_u32 v0, v0, v2 :: v_dual_add_nc_u32 v2, 1, v3
	s_delay_alu instid0(VALU_DEP_1) | instskip(NEXT) | instid1(VALU_DEP_2)
	v_cmp_le_u32_e32 vcc_lo, s33, v0
	v_cndmask_b32_e32 v2, v3, v2, vcc_lo
	v_ashrrev_i32_e32 v3, 31, v6
	s_delay_alu instid0(VALU_DEP_2) | instskip(SKIP_1) | instid1(VALU_DEP_1)
	v_add_nc_u32_e32 v6, 1, v2
	v_subrev_nc_u32_e32 v7, s33, v0
	v_cndmask_b32_e32 v0, v0, v7, vcc_lo
	s_delay_alu instid0(VALU_DEP_1) | instskip(NEXT) | instid1(VALU_DEP_4)
	v_cmp_le_u32_e32 vcc_lo, s33, v0
	v_dual_cndmask_b32 v0, v2, v6, vcc_lo :: v_dual_bitop2_b32 v3, s17, v3 bitop3:0x14
	v_mul_lo_u32 v6, v14, s7
	s_delay_alu instid0(VALU_DEP_1) | instskip(NEXT) | instid1(VALU_DEP_1)
	v_dual_ashrrev_i32 v7, 31, v6 :: v_dual_bitop2_b32 v0, v0, v3 bitop3:0x14
	v_sub_nc_u32_e32 v0, v0, v3
	s_delay_alu instid0(VALU_DEP_2) | instskip(NEXT) | instid1(VALU_DEP_2)
	v_lshl_add_u64 v[6:7], v[6:7], 3, s[10:11]
	v_mad_u32 v0, v5, s4, v0
	s_delay_alu instid0(VALU_DEP_1) | instskip(SKIP_1) | instid1(VALU_DEP_2)
	v_mad_nc_u64_u32 v[2:3], s14, v0, s[8:9]
	v_sub_nc_u32_e32 v17, v4, v0
	v_mad_u32 v3, s15, v0, v3
	s_delay_alu instid0(VALU_DEP_2) | instskip(SKIP_1) | instid1(VALU_DEP_2)
	v_dual_ashrrev_i32 v0, 31, v0 :: v_dual_add_nc_u32 v4, 1, v17
	v_cmp_gt_u32_e64 s1, 0x7fffffff, v17
	v_cvt_f64_i32_e32 v[4:5], v4
	s_delay_alu instid0(VALU_DEP_3)
	v_mad_u32 v3, s14, v0, v3
	v_mov_b32_e32 v0, v15
	s_branch .LBB4_11
.LBB4_9:                                ;   in Loop: Header=BB4_11 Depth=2
	s_or_b32 exec_lo, exec_lo, s29
.LBB4_10:                               ;   in Loop: Header=BB4_11 Depth=2
	s_delay_alu instid0(SALU_CYCLE_1) | instskip(NEXT) | instid1(VALU_DEP_2)
	s_or_b32 exec_lo, exec_lo, s28
	v_div_scale_f64 v[10:11], null, v[4:5], v[4:5], v[8:9]
	v_div_scale_f64 v[22:23], vcc_lo, v[8:9], v[4:5], v[8:9]
	s_delay_alu instid0(VALU_DEP_2) | instskip(SKIP_1) | instid1(TRANS32_DEP_1)
	v_rcp_f64_e32 v[12:13], v[10:11]
	v_nop
	v_fma_f64 v[20:21], -v[10:11], v[12:13], 1.0
	s_delay_alu instid0(VALU_DEP_1) | instskip(NEXT) | instid1(VALU_DEP_1)
	v_fmac_f64_e32 v[12:13], v[12:13], v[20:21]
	v_fma_f64 v[20:21], -v[10:11], v[12:13], 1.0
	s_delay_alu instid0(VALU_DEP_1) | instskip(NEXT) | instid1(VALU_DEP_1)
	v_fmac_f64_e32 v[12:13], v[12:13], v[20:21]
	v_mul_f64_e32 v[20:21], v[22:23], v[12:13]
	s_delay_alu instid0(VALU_DEP_1) | instskip(NEXT) | instid1(VALU_DEP_1)
	v_fma_f64 v[10:11], -v[10:11], v[20:21], v[22:23]
	v_div_fmas_f64 v[10:11], v[10:11], v[12:13], v[20:21]
	v_add_nc_u32_e32 v12, 1, v18
	s_delay_alu instid0(VALU_DEP_1) | instskip(NEXT) | instid1(VALU_DEP_3)
	v_cvt_f64_i32_e32 v[12:13], v12
	v_div_fixup_f64 v[8:9], v[10:11], v[4:5], v[8:9]
	s_delay_alu instid0(VALU_DEP_1) | instskip(NEXT) | instid1(VALU_DEP_1)
	v_div_scale_f64 v[10:11], null, v[12:13], v[12:13], v[8:9]
	v_rcp_f64_e32 v[18:19], v[10:11]
	v_nop
	s_delay_alu instid0(TRANS32_DEP_1) | instskip(NEXT) | instid1(VALU_DEP_1)
	v_fma_f64 v[20:21], -v[10:11], v[18:19], 1.0
	v_fmac_f64_e32 v[18:19], v[18:19], v[20:21]
	s_delay_alu instid0(VALU_DEP_1) | instskip(NEXT) | instid1(VALU_DEP_1)
	v_fma_f64 v[20:21], -v[10:11], v[18:19], 1.0
	v_fmac_f64_e32 v[18:19], v[18:19], v[20:21]
	v_div_scale_f64 v[20:21], vcc_lo, v[8:9], v[12:13], v[8:9]
	s_delay_alu instid0(VALU_DEP_1) | instskip(NEXT) | instid1(VALU_DEP_1)
	v_mul_f64_e32 v[22:23], v[20:21], v[18:19]
	v_fma_f64 v[10:11], -v[10:11], v[22:23], v[20:21]
	s_delay_alu instid0(VALU_DEP_1) | instskip(NEXT) | instid1(VALU_DEP_1)
	v_div_fmas_f64 v[10:11], v[10:11], v[18:19], v[22:23]
	v_div_fixup_f64 v[8:9], v[10:11], v[12:13], v[8:9]
	v_lshl_add_u64 v[10:11], v[0:1], 3, v[6:7]
	v_add_nc_u32_e32 v0, s36, v0
	s_delay_alu instid0(VALU_DEP_1)
	v_cmp_le_i32_e32 vcc_lo, s7, v0
	s_or_b32 s40, vcc_lo, s40
	global_store_b64 v[10:11], v[8:9], off
	s_wait_xcnt 0x0
	s_and_not1_b32 exec_lo, exec_lo, s40
	s_cbranch_execz .LBB4_2
.LBB4_11:                               ;   Parent Loop BB4_3 Depth=1
                                        ; =>  This Loop Header: Depth=2
                                        ;       Child Loop BB4_18 Depth 3
                                        ;         Child Loop BB4_20 Depth 4
	s_delay_alu instid0(VALU_DEP_1) | instskip(NEXT) | instid1(VALU_DEP_1)
	v_add_nc_u32_e32 v10, 1, v0
	v_mad_nc_u64_u32 v[8:9], v10, s38, -1
	s_delay_alu instid0(VALU_DEP_1) | instskip(NEXT) | instid1(VALU_DEP_1)
	v_mad_u32 v9, v10, s37, v9
	v_dual_mov_b32 v10, v1 :: v_dual_bitop2_b32 v11, s19, v9 bitop3:0x54
	s_delay_alu instid0(VALU_DEP_1) | instskip(SKIP_1) | instid1(SALU_CYCLE_1)
	v_cmp_ne_u64_e32 vcc_lo, 0, v[10:11]
                                        ; implicit-def: $vgpr10_vgpr11
	s_and_saveexec_b32 s2, vcc_lo
	s_xor_b32 s41, exec_lo, s2
	s_cbranch_execz .LBB4_13
; %bb.12:                               ;   in Loop: Header=BB4_11 Depth=2
	s_ashr_i32 s28, s19, 31
	v_dual_mov_b32 v13, v1 :: v_dual_ashrrev_i32 v10, 31, v9
	s_mov_b32 s29, s28
	v_dual_mov_b32 v21, v1 :: v_dual_mov_b32 v25, v1
	s_add_nc_u64 s[30:31], s[18:19], s[28:29]
	s_delay_alu instid0(VALU_DEP_2) | instskip(SKIP_1) | instid1(SALU_CYCLE_1)
	v_mov_b32_e32 v11, v10
	s_xor_b64 s[30:31], s[30:31], s[28:29]
	s_cvt_f32_u32 s2, s30
	s_cvt_f32_u32 s29, s31
	s_sub_nc_u64 s[44:45], 0, s[30:31]
	v_add_nc_u64_e32 v[8:9], v[8:9], v[10:11]
	s_delay_alu instid0(SALU_CYCLE_1) | instskip(NEXT) | instid1(SALU_CYCLE_3)
	s_fmamk_f32 s2, s29, 0x4f800000, s2
	v_s_rcp_f32 s2, s2
	s_delay_alu instid0(VALU_DEP_1) | instskip(NEXT) | instid1(VALU_DEP_2)
	v_xor_b32_e32 v12, v8, v10
	v_xor_b32_e32 v20, v9, v10
	s_delay_alu instid0(TRANS32_DEP_1) | instskip(NEXT) | instid1(SALU_CYCLE_3)
	s_mul_f32 s2, s2, 0x5f7ffffc
	s_mul_f32 s29, s2, 0x2f800000
	s_delay_alu instid0(SALU_CYCLE_3) | instskip(NEXT) | instid1(SALU_CYCLE_3)
	s_trunc_f32 s29, s29
	s_fmamk_f32 s2, s29, 0xcf800000, s2
	s_cvt_u32_f32 s43, s29
	s_delay_alu instid0(SALU_CYCLE_2) | instskip(NEXT) | instid1(SALU_CYCLE_3)
	s_cvt_u32_f32 s42, s2
	s_mul_u64 s[46:47], s[44:45], s[42:43]
	s_delay_alu instid0(SALU_CYCLE_1)
	s_mul_hi_u32 s49, s42, s47
	s_mul_i32 s48, s42, s47
	s_mul_hi_u32 s2, s42, s46
	s_mul_i32 s50, s43, s46
	s_add_nc_u64 s[48:49], s[2:3], s[48:49]
	s_mul_hi_u32 s29, s43, s46
	s_mul_hi_u32 s51, s43, s47
	s_add_co_u32 s2, s48, s50
	s_add_co_ci_u32 s2, s49, s29
	s_mul_i32 s46, s43, s47
	s_add_co_ci_u32 s47, s51, 0
	s_delay_alu instid0(SALU_CYCLE_1) | instskip(NEXT) | instid1(SALU_CYCLE_1)
	s_add_nc_u64 s[46:47], s[2:3], s[46:47]
	s_add_co_u32 s42, s42, s46
	s_cselect_b32 s2, -1, 0
	s_delay_alu instid0(SALU_CYCLE_1) | instskip(SKIP_1) | instid1(SALU_CYCLE_1)
	s_cmp_lg_u32 s2, 0
	s_add_co_ci_u32 s43, s43, s47
	s_mul_u64 s[44:45], s[44:45], s[42:43]
	s_delay_alu instid0(SALU_CYCLE_1)
	s_mul_hi_u32 s47, s42, s45
	s_mul_i32 s46, s42, s45
	s_mul_hi_u32 s2, s42, s44
	s_mul_i32 s48, s43, s44
	s_add_nc_u64 s[46:47], s[2:3], s[46:47]
	s_mul_hi_u32 s29, s43, s44
	s_mul_hi_u32 s49, s43, s45
	s_add_co_u32 s2, s46, s48
	s_add_co_ci_u32 s2, s47, s29
	s_mul_i32 s44, s43, s45
	s_add_co_ci_u32 s45, s49, 0
	s_delay_alu instid0(SALU_CYCLE_1) | instskip(NEXT) | instid1(SALU_CYCLE_1)
	s_add_nc_u64 s[44:45], s[2:3], s[44:45]
	s_add_co_u32 s42, s42, s44
	s_cselect_b32 s2, -1, 0
	v_mul_hi_u32 v24, v12, s42
	s_cmp_lg_u32 s2, 0
	s_add_co_ci_u32 s2, s43, s45
	s_and_b64 s[44:45], s[42:43], s[22:23]
	v_mul_u64_e32 v[18:19], s[2:3], v[12:13]
	v_mul_u64_e32 v[8:9], s[44:45], v[20:21]
	;; [unrolled: 1-line block ×3, first 2 shown]
	s_delay_alu instid0(VALU_DEP_3) | instskip(NEXT) | instid1(VALU_DEP_1)
	v_add_nc_u64_e32 v[18:19], v[24:25], v[18:19]
	v_add_co_u32 v8, vcc_lo, v18, v8
	s_delay_alu instid0(VALU_DEP_2) | instskip(NEXT) | instid1(VALU_DEP_4)
	v_add_co_ci_u32_e32 v24, vcc_lo, v19, v9, vcc_lo
	v_add_co_ci_u32_e32 v23, vcc_lo, 0, v23, vcc_lo
	s_delay_alu instid0(VALU_DEP_1) | instskip(NEXT) | instid1(VALU_DEP_1)
	v_add_nc_u64_e32 v[8:9], v[24:25], v[22:23]
	v_mul_u64_e32 v[18:19], s[30:31], v[8:9]
	s_delay_alu instid0(VALU_DEP_1) | instskip(NEXT) | instid1(VALU_DEP_2)
	v_sub_nc_u32_e32 v11, v20, v19
	v_sub_co_u32 v12, vcc_lo, v12, v18
	s_delay_alu instid0(VALU_DEP_1) | instskip(NEXT) | instid1(VALU_DEP_3)
	v_sub_co_ci_u32_e64 v20, null, v20, v19, vcc_lo
	v_subrev_co_ci_u32_e64 v11, null, s31, v11, vcc_lo
	s_delay_alu instid0(VALU_DEP_3) | instskip(NEXT) | instid1(VALU_DEP_1)
	v_sub_co_u32 v13, s2, v12, s30
	v_subrev_co_ci_u32_e64 v11, null, 0, v11, s2
	s_delay_alu instid0(VALU_DEP_2) | instskip(SKIP_1) | instid1(VALU_DEP_3)
	v_cmp_le_u32_e32 vcc_lo, s30, v13
	v_cndmask_b32_e64 v13, 0, -1, vcc_lo
	v_cmp_le_u32_e32 vcc_lo, s31, v11
	v_cndmask_b32_e64 v18, 0, -1, vcc_lo
	;; [unrolled: 2-line block ×4, first 2 shown]
	v_cmp_eq_u32_e32 vcc_lo, s31, v11
	v_cndmask_b32_e32 v11, v18, v13, vcc_lo
	v_cmp_eq_u32_e32 vcc_lo, s31, v20
	v_add_nc_u64_e32 v[12:13], 2, v[8:9]
	v_add_nc_u64_e32 v[18:19], 1, v[8:9]
	v_cndmask_b32_e32 v20, v22, v21, vcc_lo
	v_cmp_ne_u32_e32 vcc_lo, 0, v11
	s_delay_alu instid0(VALU_DEP_2) | instskip(NEXT) | instid1(VALU_DEP_4)
	v_cmp_ne_u32_e64 s2, 0, v20
	v_dual_cndmask_b32 v11, v19, v13 :: v_dual_cndmask_b32 v12, v18, v12
	s_delay_alu instid0(VALU_DEP_1) | instskip(NEXT) | instid1(VALU_DEP_1)
	v_dual_cndmask_b32 v9, v9, v11, s2 :: v_dual_bitop2_b32 v10, s28, v10 bitop3:0x14
	v_dual_cndmask_b32 v8, v8, v12, s2 :: v_dual_mov_b32 v11, v10
	s_delay_alu instid0(VALU_DEP_2) | instskip(NEXT) | instid1(VALU_DEP_2)
	v_xor_b32_e32 v9, v9, v10
	v_xor_b32_e32 v8, v8, v10
	s_delay_alu instid0(VALU_DEP_1)
	v_sub_nc_u64_e32 v[10:11], v[8:9], v[10:11]
                                        ; implicit-def: $vgpr8_vgpr9
.LBB4_13:                               ;   in Loop: Header=BB4_11 Depth=2
	s_and_not1_saveexec_b32 s2, s41
	s_cbranch_execz .LBB4_15
; %bb.14:                               ;   in Loop: Header=BB4_11 Depth=2
	v_cvt_f32_u32_e32 v9, s18
	s_sub_co_i32 s28, 0, s18
	s_delay_alu instid0(VALU_DEP_1) | instskip(SKIP_1) | instid1(TRANS32_DEP_1)
	v_rcp_iflag_f32_e32 v9, v9
	v_nop
	v_mul_f32_e32 v9, 0x4f7ffffe, v9
	s_delay_alu instid0(VALU_DEP_1) | instskip(NEXT) | instid1(VALU_DEP_1)
	v_cvt_u32_f32_e32 v9, v9
	v_mul_lo_u32 v10, s28, v9
	s_delay_alu instid0(VALU_DEP_1) | instskip(NEXT) | instid1(VALU_DEP_1)
	v_mul_hi_u32 v10, v9, v10
	v_add_nc_u32_e32 v9, v9, v10
	s_delay_alu instid0(VALU_DEP_1) | instskip(NEXT) | instid1(VALU_DEP_1)
	v_mul_hi_u32 v9, v8, v9
	v_mul_lo_u32 v10, v9, s18
	s_delay_alu instid0(VALU_DEP_1) | instskip(NEXT) | instid1(VALU_DEP_1)
	v_dual_sub_nc_u32 v8, v8, v10 :: v_dual_add_nc_u32 v10, 1, v9
	v_subrev_nc_u32_e32 v11, s18, v8
	v_cmp_le_u32_e32 vcc_lo, s18, v8
	s_delay_alu instid0(VALU_DEP_2) | instskip(NEXT) | instid1(VALU_DEP_1)
	v_dual_cndmask_b32 v8, v8, v11 :: v_dual_cndmask_b32 v9, v9, v10
	v_cmp_le_u32_e32 vcc_lo, s18, v8
	s_delay_alu instid0(VALU_DEP_2) | instskip(NEXT) | instid1(VALU_DEP_1)
	v_add_nc_u32_e32 v10, 1, v9
	v_cndmask_b32_e32 v10, v9, v10, vcc_lo
.LBB4_15:                               ;   in Loop: Header=BB4_11 Depth=2
	s_or_b32 exec_lo, exec_lo, s2
	v_mul_u64_e32 v[8:9], s[12:13], v[0:1]
	v_mul_lo_u32 v11, v0, s5
	s_delay_alu instid0(VALU_DEP_1) | instskip(NEXT) | instid1(VALU_DEP_1)
	v_dual_mov_b32 v13, v1 :: v_dual_sub_nc_u32 v8, 0, v11
	v_max_i32_e32 v12, v11, v8
	s_delay_alu instid0(VALU_DEP_4) | instskip(NEXT) | instid1(VALU_DEP_1)
	v_mul_lo_u32 v8, v9, s35
	v_sub_nc_u32_e32 v8, v0, v8
	s_delay_alu instid0(VALU_DEP_3) | instskip(NEXT) | instid1(VALU_DEP_2)
	v_mul_u64_e32 v[18:19], s[12:13], v[12:13]
	v_subrev_nc_u32_e32 v20, s35, v8
	v_cmp_le_u32_e32 vcc_lo, s35, v8
	s_delay_alu instid0(VALU_DEP_2) | instskip(NEXT) | instid1(VALU_DEP_4)
	v_dual_cndmask_b32 v8, v8, v20 :: v_dual_add_nc_u32 v13, 1, v9
	v_mul_lo_u32 v18, v19, s35
	s_delay_alu instid0(VALU_DEP_2) | instskip(NEXT) | instid1(VALU_DEP_3)
	v_cndmask_b32_e32 v9, v9, v13, vcc_lo
	v_cmp_le_u32_e32 vcc_lo, s35, v8
	s_delay_alu instid0(VALU_DEP_2) | instskip(NEXT) | instid1(VALU_DEP_1)
	v_dual_sub_nc_u32 v12, v12, v18 :: v_dual_add_nc_u32 v13, 1, v9
	v_dual_add_nc_u32 v18, 1, v19 :: v_dual_cndmask_b32 v8, v9, v13, vcc_lo
	s_delay_alu instid0(VALU_DEP_2) | instskip(SKIP_1) | instid1(VALU_DEP_3)
	v_subrev_nc_u32_e32 v9, s35, v12
	v_cmp_le_u32_e32 vcc_lo, s35, v12
	v_dual_cndmask_b32 v13, v19, v18, vcc_lo :: v_dual_ashrrev_i32 v11, 31, v11
	s_delay_alu instid0(VALU_DEP_3) | instskip(NEXT) | instid1(VALU_DEP_2)
	v_dual_cndmask_b32 v9, v12, v9, vcc_lo :: v_dual_bitop2_b32 v8, s19, v8 bitop3:0x14
	v_dual_add_nc_u32 v12, 1, v13 :: v_dual_bitop2_b32 v11, s19, v11 bitop3:0x14
	s_delay_alu instid0(VALU_DEP_2) | instskip(NEXT) | instid1(VALU_DEP_3)
	v_cmp_le_u32_e32 vcc_lo, s35, v9
	v_subrev_nc_u32_e32 v8, s19, v8
	s_delay_alu instid0(VALU_DEP_3) | instskip(NEXT) | instid1(VALU_DEP_2)
	v_cndmask_b32_e32 v9, v13, v12, vcc_lo
	v_mul_lo_u32 v20, v8, s5
	s_delay_alu instid0(VALU_DEP_2) | instskip(NEXT) | instid1(VALU_DEP_1)
	v_xor_b32_e32 v19, v9, v11
	v_sub_nc_u32_e32 v8, v19, v11
	s_delay_alu instid0(VALU_DEP_1) | instskip(SKIP_1) | instid1(VALU_DEP_2)
	v_add_nc_u32_e32 v21, v8, v20
	v_mov_b64_e32 v[8:9], 0
	v_sub_nc_u32_e32 v18, v10, v21
	s_and_saveexec_b32 s28, s1
	s_cbranch_execz .LBB4_10
; %bb.16:                               ;   in Loop: Header=BB4_11 Depth=2
	v_mad_nc_u64_u32 v[12:13], s24, v21, v[2:3]
	v_dual_add_nc_u32 v9, v11, v10 :: v_dual_ashrrev_i32 v10, 31, v21
	s_mov_b32 s29, 0
	s_mov_b32 s30, 0
	v_cmp_gt_u32_e32 vcc_lo, 0x7fffffff, v18
	s_delay_alu instid0(VALU_DEP_2) | instskip(NEXT) | instid1(VALU_DEP_4)
	v_sub_nc_u32_e32 v9, v9, v20
	v_mad_u32 v8, s25, v21, v13
	s_delay_alu instid0(VALU_DEP_1) | instskip(NEXT) | instid1(VALU_DEP_3)
	v_mad_u32 v13, s24, v10, v8
	v_sub_nc_u32_e32 v10, v9, v19
	v_mov_b64_e32 v[8:9], 0
	s_delay_alu instid0(VALU_DEP_2)
	v_add_nc_u32_e32 v19, 1, v10
	s_branch .LBB4_18
.LBB4_17:                               ;   in Loop: Header=BB4_18 Depth=3
	s_or_b32 exec_lo, exec_lo, s31
	v_cmp_eq_u32_e64 s2, s30, v17
	s_delay_alu instid0(VALU_DEP_2) | instskip(SKIP_2) | instid1(SALU_CYCLE_1)
	v_add_nc_u64_e32 v[12:13], s[14:15], v[12:13]
	s_add_co_i32 s30, s30, 1
	s_or_b32 s29, s2, s29
	s_and_not1_b32 exec_lo, exec_lo, s29
	s_cbranch_execz .LBB4_9
.LBB4_18:                               ;   Parent Loop BB4_3 Depth=1
                                        ;     Parent Loop BB4_11 Depth=2
                                        ; =>    This Loop Header: Depth=3
                                        ;         Child Loop BB4_20 Depth 4
	s_and_saveexec_b32 s31, vcc_lo
	s_cbranch_execz .LBB4_17
; %bb.19:                               ;   in Loop: Header=BB4_18 Depth=3
	s_delay_alu instid0(VALU_DEP_1)
	v_mov_b64_e32 v[10:11], v[12:13]
	v_mov_b32_e32 v20, v19
	s_mov_b32 s41, 0
.LBB4_20:                               ;   Parent Loop BB4_3 Depth=1
                                        ;     Parent Loop BB4_11 Depth=2
                                        ;       Parent Loop BB4_18 Depth=3
                                        ; =>      This Inner Loop Header: Depth=4
	global_load_b64 v[22:23], v[10:11], off
	s_wait_xcnt 0x0
	v_add_nc_u64_e32 v[10:11], s[24:25], v[10:11]
	v_add_nc_u32_e32 v20, -1, v20
	s_delay_alu instid0(VALU_DEP_1)
	v_cmp_eq_u32_e64 s2, 0, v20
	s_or_b32 s41, s2, s41
	s_wait_loadcnt 0x0
	v_add_f64_e32 v[8:9], v[8:9], v[22:23]
	s_and_not1_b32 exec_lo, exec_lo, s41
	s_cbranch_execnz .LBB4_20
; %bb.21:                               ;   in Loop: Header=BB4_18 Depth=3
	s_or_b32 exec_lo, exec_lo, s41
	s_branch .LBB4_17
.LBB4_22:
	s_endpgm
	.section	.rodata,"a",@progbits
	.p2align	6, 0x0
	.amdhsa_kernel _ZN2at6native12_GLOBAL__N_121adaptive_average_poolIdEEvPKT_PS3_iiiilll
		.amdhsa_group_segment_fixed_size 0
		.amdhsa_private_segment_fixed_size 0
		.amdhsa_kernarg_size 312
		.amdhsa_user_sgpr_count 2
		.amdhsa_user_sgpr_dispatch_ptr 0
		.amdhsa_user_sgpr_queue_ptr 0
		.amdhsa_user_sgpr_kernarg_segment_ptr 1
		.amdhsa_user_sgpr_dispatch_id 0
		.amdhsa_user_sgpr_kernarg_preload_length 0
		.amdhsa_user_sgpr_kernarg_preload_offset 0
		.amdhsa_user_sgpr_private_segment_size 0
		.amdhsa_wavefront_size32 1
		.amdhsa_uses_dynamic_stack 0
		.amdhsa_enable_private_segment 0
		.amdhsa_system_sgpr_workgroup_id_x 1
		.amdhsa_system_sgpr_workgroup_id_y 1
		.amdhsa_system_sgpr_workgroup_id_z 0
		.amdhsa_system_sgpr_workgroup_info 0
		.amdhsa_system_vgpr_workitem_id 1
		.amdhsa_next_free_vgpr 26
		.amdhsa_next_free_sgpr 52
		.amdhsa_named_barrier_count 0
		.amdhsa_reserve_vcc 1
		.amdhsa_float_round_mode_32 0
		.amdhsa_float_round_mode_16_64 0
		.amdhsa_float_denorm_mode_32 3
		.amdhsa_float_denorm_mode_16_64 3
		.amdhsa_fp16_overflow 0
		.amdhsa_memory_ordered 1
		.amdhsa_forward_progress 1
		.amdhsa_inst_pref_size 24
		.amdhsa_round_robin_scheduling 0
		.amdhsa_exception_fp_ieee_invalid_op 0
		.amdhsa_exception_fp_denorm_src 0
		.amdhsa_exception_fp_ieee_div_zero 0
		.amdhsa_exception_fp_ieee_overflow 0
		.amdhsa_exception_fp_ieee_underflow 0
		.amdhsa_exception_fp_ieee_inexact 0
		.amdhsa_exception_int_div_zero 0
	.end_amdhsa_kernel
	.section	.text._ZN2at6native12_GLOBAL__N_121adaptive_average_poolIdEEvPKT_PS3_iiiilll,"axG",@progbits,_ZN2at6native12_GLOBAL__N_121adaptive_average_poolIdEEvPKT_PS3_iiiilll,comdat
.Lfunc_end4:
	.size	_ZN2at6native12_GLOBAL__N_121adaptive_average_poolIdEEvPKT_PS3_iiiilll, .Lfunc_end4-_ZN2at6native12_GLOBAL__N_121adaptive_average_poolIdEEvPKT_PS3_iiiilll
                                        ; -- End function
	.set _ZN2at6native12_GLOBAL__N_121adaptive_average_poolIdEEvPKT_PS3_iiiilll.num_vgpr, 26
	.set _ZN2at6native12_GLOBAL__N_121adaptive_average_poolIdEEvPKT_PS3_iiiilll.num_agpr, 0
	.set _ZN2at6native12_GLOBAL__N_121adaptive_average_poolIdEEvPKT_PS3_iiiilll.numbered_sgpr, 52
	.set _ZN2at6native12_GLOBAL__N_121adaptive_average_poolIdEEvPKT_PS3_iiiilll.num_named_barrier, 0
	.set _ZN2at6native12_GLOBAL__N_121adaptive_average_poolIdEEvPKT_PS3_iiiilll.private_seg_size, 0
	.set _ZN2at6native12_GLOBAL__N_121adaptive_average_poolIdEEvPKT_PS3_iiiilll.uses_vcc, 1
	.set _ZN2at6native12_GLOBAL__N_121adaptive_average_poolIdEEvPKT_PS3_iiiilll.uses_flat_scratch, 0
	.set _ZN2at6native12_GLOBAL__N_121adaptive_average_poolIdEEvPKT_PS3_iiiilll.has_dyn_sized_stack, 0
	.set _ZN2at6native12_GLOBAL__N_121adaptive_average_poolIdEEvPKT_PS3_iiiilll.has_recursion, 0
	.set _ZN2at6native12_GLOBAL__N_121adaptive_average_poolIdEEvPKT_PS3_iiiilll.has_indirect_call, 0
	.section	.AMDGPU.csdata,"",@progbits
; Kernel info:
; codeLenInByte = 3028
; TotalNumSgprs: 54
; NumVgprs: 26
; ScratchSize: 0
; MemoryBound: 0
; FloatMode: 240
; IeeeMode: 1
; LDSByteSize: 0 bytes/workgroup (compile time only)
; SGPRBlocks: 0
; VGPRBlocks: 1
; NumSGPRsForWavesPerEU: 54
; NumVGPRsForWavesPerEU: 26
; NamedBarCnt: 0
; Occupancy: 16
; WaveLimiterHint : 0
; COMPUTE_PGM_RSRC2:SCRATCH_EN: 0
; COMPUTE_PGM_RSRC2:USER_SGPR: 2
; COMPUTE_PGM_RSRC2:TRAP_HANDLER: 0
; COMPUTE_PGM_RSRC2:TGID_X_EN: 1
; COMPUTE_PGM_RSRC2:TGID_Y_EN: 1
; COMPUTE_PGM_RSRC2:TGID_Z_EN: 0
; COMPUTE_PGM_RSRC2:TIDIG_COMP_CNT: 1
	.section	.text._ZN2at6native12_GLOBAL__N_121adaptive_average_poolIfEEvPKT_PS3_iiiilll,"axG",@progbits,_ZN2at6native12_GLOBAL__N_121adaptive_average_poolIfEEvPKT_PS3_iiiilll,comdat
	.globl	_ZN2at6native12_GLOBAL__N_121adaptive_average_poolIfEEvPKT_PS3_iiiilll ; -- Begin function _ZN2at6native12_GLOBAL__N_121adaptive_average_poolIfEEvPKT_PS3_iiiilll
	.p2align	8
	.type	_ZN2at6native12_GLOBAL__N_121adaptive_average_poolIfEEvPKT_PS3_iiiilll,@function
_ZN2at6native12_GLOBAL__N_121adaptive_average_poolIfEEvPKT_PS3_iiiilll: ; @_ZN2at6native12_GLOBAL__N_121adaptive_average_poolIfEEvPKT_PS3_iiiilll
; %bb.0:
	s_clause 0x1
	s_load_b32 s2, s[0:1], 0x44
	s_load_b128 s[4:7], s[0:1], 0x10
	s_bfe_u32 s3, ttmp6, 0x40010
	s_bfe_u32 s8, ttmp6, 0x40004
	s_add_co_i32 s3, s3, 1
	s_getreg_b32 s16, hwreg(HW_REG_IB_STS2, 6, 4)
	s_mul_i32 s3, ttmp7, s3
	v_bfe_u32 v1, v0, 10, 10
	s_add_co_i32 s8, s8, s3
	s_wait_kmcnt 0x0
	s_lshr_b32 s17, s2, 16
	s_cmp_eq_u32 s16, 0
	s_cselect_b32 s3, ttmp7, s8
	s_mov_b32 s8, exec_lo
	v_mad_u32 v10, s3, s17, v1
	s_mov_b32 s3, 0
	s_delay_alu instid0(VALU_DEP_1)
	v_cmpx_gt_i32_e64 s6, v10
	s_cbranch_execz .LBB5_22
; %bb.1:
	s_load_b128 s[8:11], s[0:1], 0x0
	s_bfe_u32 s14, ttmp6, 0x4000c
	s_and_b32 s18, ttmp6, 15
	s_add_co_i32 s14, s14, 1
	s_add_nc_u64 s[12:13], s[0:1], 56
	s_mul_i32 s19, ttmp9, s14
	s_load_b32 s34, s[12:13], 0x4
	s_add_co_i32 s18, s18, s19
	s_cmp_eq_u32 s16, 0
	s_mov_b32 s16, s6
	s_cselect_b32 s22, ttmp9, s18
	v_cvt_f32_u32_e32 v1, s16
	s_wait_xcnt 0x0
	s_clause 0x1
	s_load_b128 s[12:15], s[0:1], 0x20
	s_load_b64 s[24:25], s[0:1], 0x30
	s_wait_xcnt 0x0
	s_mul_i32 s0, s6, s22
	s_abs_i32 s33, s6
	s_mul_i32 s0, s0, s7
	v_rcp_iflag_f32_e32 v1, v1
	s_cvt_f32_u32 s18, s33
	s_ashr_i32 s1, s0, 31
	s_abs_i32 s35, s7
	s_lshl_b64 s[0:1], s[0:1], 2
	v_rcp_iflag_f32_e32 v2, s18
	s_wait_kmcnt 0x0
	s_add_nc_u64 s[10:11], s[10:11], s[0:1]
	s_cvt_f32_u32 s0, s35
	v_mul_f32_e32 v1, 0x4f7ffffe, v1
	v_and_b32_e32 v11, 0x3ff, v0
	s_sub_co_i32 s18, 0, s6
	v_rcp_iflag_f32_e32 v0, s0
	v_readfirstlane_b32 s1, v2
	v_cvt_u32_f32_e32 v2, v1
	s_and_b32 s36, s2, 0xffff
	s_ashr_i32 s23, s22, 31
	v_cmp_gt_i32_e64 s0, s7, v11
	s_mul_f32 s1, s1, 0x4f7ffffe
	v_readfirstlane_b32 s2, v0
	v_mul_lo_u32 v0, s18, v2
	s_sub_co_i32 s18, 0, s33
	s_cvt_u32_f32 s1, s1
	s_mul_u64 s[22:23], s[12:13], s[22:23]
	s_mul_f32 s2, s2, 0x4f7ffffe
	v_mov_b32_e32 v1, 0
	s_mul_i32 s20, s18, s1
	s_mul_i32 s34, s34, s17
	s_mul_hi_u32 s20, s1, s20
	s_cvt_u32_f32 s2, s2
	s_add_co_i32 s20, s1, s20
	v_mul_hi_u32 v0, v2, v0
	s_sub_co_i32 s1, 0, s35
	s_ashr_i32 s17, s6, 31
	s_mul_i32 s1, s1, s2
	s_lshl_b64 s[22:23], s[22:23], 2
	s_mul_hi_u32 s1, s2, s1
	s_ashr_i32 s37, s5, 31
	s_mov_b32 s38, s5
	s_ashr_i32 s19, s7, 31
	s_mov_b32 s18, s7
	s_mov_b32 s21, s3
	v_add_nc_u32_e32 v12, v2, v0
	s_add_co_i32 s12, s2, s1
	s_mov_b32 s13, s3
	s_add_nc_u64 s[8:9], s[8:9], s[22:23]
	s_lshl_b64 s[14:15], s[14:15], 2
	s_mov_b64 s[22:23], 0xffffffff
	s_lshl_b64 s[24:25], s[24:25], 2
	s_ashr_i32 s26, s17, 31
	s_mov_b32 s39, 0
	s_branch .LBB5_3
.LBB5_2:                                ;   in Loop: Header=BB5_3 Depth=1
	s_or_b32 exec_lo, exec_lo, s27
	v_add_nc_u32_e32 v10, s34, v10
	s_delay_alu instid0(VALU_DEP_1) | instskip(SKIP_1) | instid1(SALU_CYCLE_1)
	v_cmp_le_i32_e32 vcc_lo, s6, v10
	s_or_b32 s39, vcc_lo, s39
	s_and_not1_b32 exec_lo, exec_lo, s39
	s_cbranch_execz .LBB5_22
.LBB5_3:                                ; =>This Loop Header: Depth=1
                                        ;     Child Loop BB5_11 Depth 2
                                        ;       Child Loop BB5_18 Depth 3
                                        ;         Child Loop BB5_20 Depth 4
	v_dual_add_nc_u32 v0, 1, v10 :: v_dual_mov_b32 v4, v1
	s_delay_alu instid0(VALU_DEP_1) | instskip(NEXT) | instid1(VALU_DEP_1)
	v_mad_nc_i64_i32 v[2:3], v0, s4, -1
	v_or_b32_e32 v5, s17, v3
	s_delay_alu instid0(VALU_DEP_1) | instskip(SKIP_1) | instid1(SALU_CYCLE_1)
	v_cmp_ne_u64_e32 vcc_lo, 0, v[4:5]
                                        ; implicit-def: $vgpr4_vgpr5
	s_and_saveexec_b32 s1, vcc_lo
	s_xor_b32 s30, exec_lo, s1
	s_cbranch_execnz .LBB5_6
; %bb.4:                                ;   in Loop: Header=BB5_3 Depth=1
	s_and_not1_saveexec_b32 s1, s30
	s_cbranch_execnz .LBB5_7
.LBB5_5:                                ;   in Loop: Header=BB5_3 Depth=1
	s_or_b32 exec_lo, exec_lo, s1
	s_and_saveexec_b32 s27, s0
	s_cbranch_execz .LBB5_2
	s_branch .LBB5_8
.LBB5_6:                                ;   in Loop: Header=BB5_3 Depth=1
	s_mov_b32 s27, s26
	v_dual_mov_b32 v9, v1 :: v_dual_ashrrev_i32 v4, 31, v3
	s_add_nc_u64 s[28:29], s[16:17], s[26:27]
	v_mov_b32_e32 v17, v1
	s_xor_b64 s[28:29], s[28:29], s[26:27]
	s_delay_alu instid0(VALU_DEP_2) | instskip(SKIP_3) | instid1(VALU_DEP_1)
	v_mov_b32_e32 v5, v4
	s_cvt_f32_u32 s1, s28
	s_cvt_f32_u32 s2, s29
	s_sub_nc_u64 s[42:43], 0, s[28:29]
	v_add_nc_u64_e32 v[2:3], v[2:3], v[4:5]
	s_delay_alu instid0(SALU_CYCLE_1) | instskip(NEXT) | instid1(SALU_CYCLE_3)
	s_fmamk_f32 s1, s2, 0x4f800000, s1
	v_s_rcp_f32 s1, s1
	s_delay_alu instid0(VALU_DEP_1) | instskip(NEXT) | instid1(VALU_DEP_2)
	v_xor_b32_e32 v0, v2, v4
	v_xor_b32_e32 v8, v3, v4
	v_xor_b32_e32 v4, s26, v4
	s_delay_alu instid0(TRANS32_DEP_1) | instskip(NEXT) | instid1(SALU_CYCLE_3)
	s_mul_f32 s1, s1, 0x5f7ffffc
	s_mul_f32 s2, s1, 0x2f800000
	s_delay_alu instid0(SALU_CYCLE_3) | instskip(NEXT) | instid1(SALU_CYCLE_3)
	s_trunc_f32 s2, s2
	s_fmamk_f32 s1, s2, 0xcf800000, s1
	s_cvt_u32_f32 s41, s2
	s_delay_alu instid0(SALU_CYCLE_2) | instskip(NEXT) | instid1(SALU_CYCLE_3)
	s_cvt_u32_f32 s40, s1
	s_mul_u64 s[44:45], s[42:43], s[40:41]
	s_delay_alu instid0(SALU_CYCLE_1)
	s_mul_hi_u32 s47, s40, s45
	s_mul_i32 s46, s40, s45
	s_mul_hi_u32 s2, s40, s44
	s_mul_i32 s27, s41, s44
	s_add_nc_u64 s[46:47], s[2:3], s[46:47]
	s_mul_hi_u32 s1, s41, s44
	s_mul_hi_u32 s31, s41, s45
	s_add_co_u32 s2, s46, s27
	s_add_co_ci_u32 s2, s47, s1
	s_mul_i32 s44, s41, s45
	s_add_co_ci_u32 s45, s31, 0
	s_delay_alu instid0(SALU_CYCLE_1) | instskip(NEXT) | instid1(SALU_CYCLE_1)
	s_add_nc_u64 s[44:45], s[2:3], s[44:45]
	s_add_co_u32 s40, s40, s44
	s_cselect_b32 s1, -1, 0
	s_delay_alu instid0(SALU_CYCLE_1) | instskip(SKIP_1) | instid1(SALU_CYCLE_1)
	s_cmp_lg_u32 s1, 0
	s_add_co_ci_u32 s41, s41, s45
	s_mul_u64 s[42:43], s[42:43], s[40:41]
	s_delay_alu instid0(SALU_CYCLE_1)
	s_mul_hi_u32 s45, s40, s43
	s_mul_i32 s44, s40, s43
	s_mul_hi_u32 s2, s40, s42
	s_mul_i32 s27, s41, s42
	s_add_nc_u64 s[44:45], s[2:3], s[44:45]
	s_mul_hi_u32 s1, s41, s42
	s_mul_hi_u32 s31, s41, s43
	s_add_co_u32 s2, s44, s27
	s_add_co_ci_u32 s2, s45, s1
	s_mul_i32 s42, s41, s43
	s_add_co_ci_u32 s43, s31, 0
	s_delay_alu instid0(SALU_CYCLE_1) | instskip(NEXT) | instid1(SALU_CYCLE_1)
	s_add_nc_u64 s[42:43], s[2:3], s[42:43]
	s_add_co_u32 s40, s40, s42
	s_cselect_b32 s1, -1, 0
	v_mul_hi_u32 v16, v0, s40
	s_cmp_lg_u32 s1, 0
	s_add_co_ci_u32 s2, s41, s43
	s_and_b64 s[42:43], s[40:41], s[22:23]
	v_mul_u64_e32 v[6:7], s[2:3], v[0:1]
	v_mul_u64_e32 v[2:3], s[42:43], v[8:9]
	;; [unrolled: 1-line block ×3, first 2 shown]
	s_delay_alu instid0(VALU_DEP_3) | instskip(NEXT) | instid1(VALU_DEP_1)
	v_add_nc_u64_e32 v[6:7], v[16:17], v[6:7]
	v_add_co_u32 v2, vcc_lo, v6, v2
	s_delay_alu instid0(VALU_DEP_2) | instskip(NEXT) | instid1(VALU_DEP_4)
	v_add_co_ci_u32_e32 v16, vcc_lo, v7, v3, vcc_lo
	v_add_co_ci_u32_e32 v15, vcc_lo, 0, v15, vcc_lo
	s_delay_alu instid0(VALU_DEP_1) | instskip(NEXT) | instid1(VALU_DEP_1)
	v_add_nc_u64_e32 v[2:3], v[16:17], v[14:15]
	v_mul_u64_e32 v[6:7], s[28:29], v[2:3]
	s_delay_alu instid0(VALU_DEP_1) | instskip(NEXT) | instid1(VALU_DEP_2)
	v_sub_nc_u32_e32 v5, v8, v7
	v_sub_co_u32 v0, vcc_lo, v0, v6
	s_delay_alu instid0(VALU_DEP_1) | instskip(NEXT) | instid1(VALU_DEP_3)
	v_sub_co_ci_u32_e64 v13, null, v8, v7, vcc_lo
	v_subrev_co_ci_u32_e64 v5, null, s29, v5, vcc_lo
	s_delay_alu instid0(VALU_DEP_3) | instskip(SKIP_1) | instid1(VALU_DEP_3)
	v_sub_co_u32 v6, s1, v0, s28
	v_add_nc_u64_e32 v[8:9], 1, v[2:3]
	v_subrev_co_ci_u32_e64 v5, null, 0, v5, s1
	s_delay_alu instid0(VALU_DEP_3) | instskip(SKIP_1) | instid1(VALU_DEP_3)
	v_cmp_le_u32_e32 vcc_lo, s28, v6
	v_cndmask_b32_e64 v6, 0, -1, vcc_lo
	v_cmp_le_u32_e32 vcc_lo, s29, v5
	v_cndmask_b32_e64 v7, 0, -1, vcc_lo
	;; [unrolled: 2-line block ×4, first 2 shown]
	v_cmp_eq_u32_e32 vcc_lo, s29, v5
	v_cndmask_b32_e32 v5, v7, v6, vcc_lo
	v_cmp_eq_u32_e32 vcc_lo, s29, v13
	v_add_nc_u64_e32 v[6:7], 2, v[2:3]
	v_cndmask_b32_e32 v0, v14, v0, vcc_lo
	s_delay_alu instid0(VALU_DEP_4) | instskip(NEXT) | instid1(VALU_DEP_2)
	v_cmp_ne_u32_e32 vcc_lo, 0, v5
	v_cmp_ne_u32_e64 s1, 0, v0
	s_delay_alu instid0(VALU_DEP_4) | instskip(NEXT) | instid1(VALU_DEP_1)
	v_dual_cndmask_b32 v5, v9, v7 :: v_dual_cndmask_b32 v0, v8, v6
	v_dual_cndmask_b32 v3, v3, v5, s1 :: v_dual_cndmask_b32 v0, v2, v0, s1
	s_delay_alu instid0(VALU_DEP_1) | instskip(NEXT) | instid1(VALU_DEP_2)
	v_dual_mov_b32 v5, v4 :: v_dual_bitop2_b32 v3, v3, v4 bitop3:0x14
	v_xor_b32_e32 v2, v0, v4
	s_delay_alu instid0(VALU_DEP_1)
	v_sub_nc_u64_e32 v[4:5], v[2:3], v[4:5]
                                        ; implicit-def: $vgpr2_vgpr3
	s_and_not1_saveexec_b32 s1, s30
	s_cbranch_execz .LBB5_5
.LBB5_7:                                ;   in Loop: Header=BB5_3 Depth=1
	s_delay_alu instid0(VALU_DEP_3) | instskip(NEXT) | instid1(VALU_DEP_1)
	v_mul_hi_u32 v0, v2, v12
	v_mul_lo_u32 v3, v0, s16
	s_delay_alu instid0(VALU_DEP_1) | instskip(NEXT) | instid1(VALU_DEP_1)
	v_dual_sub_nc_u32 v2, v2, v3 :: v_dual_add_nc_u32 v3, 1, v0
	v_subrev_nc_u32_e32 v4, s16, v2
	v_cmp_le_u32_e32 vcc_lo, s16, v2
	s_delay_alu instid0(VALU_DEP_2) | instskip(NEXT) | instid1(VALU_DEP_1)
	v_dual_cndmask_b32 v2, v2, v4, vcc_lo :: v_dual_cndmask_b32 v0, v0, v3, vcc_lo
	v_cmp_le_u32_e32 vcc_lo, s16, v2
	s_delay_alu instid0(VALU_DEP_2) | instskip(NEXT) | instid1(VALU_DEP_1)
	v_add_nc_u32_e32 v3, 1, v0
	v_cndmask_b32_e32 v4, v0, v3, vcc_lo
	s_or_b32 exec_lo, exec_lo, s1
	s_and_saveexec_b32 s27, s0
	s_cbranch_execz .LBB5_2
.LBB5_8:                                ;   in Loop: Header=BB5_3 Depth=1
	v_sub_nc_u32_e32 v0, 0, v10
	s_mov_b32 s40, 0
	s_delay_alu instid0(VALU_DEP_1) | instskip(NEXT) | instid1(VALU_DEP_1)
	v_max_i32_e32 v0, v10, v0
	v_mul_u64_e32 v[2:3], s[20:21], v[0:1]
	s_delay_alu instid0(VALU_DEP_1) | instskip(NEXT) | instid1(VALU_DEP_1)
	v_mul_lo_u32 v2, v3, s33
	v_dual_sub_nc_u32 v0, v0, v2 :: v_dual_add_nc_u32 v2, 1, v3
	s_delay_alu instid0(VALU_DEP_1) | instskip(SKIP_1) | instid1(VALU_DEP_3)
	v_subrev_nc_u32_e32 v5, s33, v0
	v_cmp_le_u32_e32 vcc_lo, s33, v0
	v_cndmask_b32_e32 v2, v3, v2, vcc_lo
	s_delay_alu instid0(VALU_DEP_3) | instskip(NEXT) | instid1(VALU_DEP_2)
	v_dual_cndmask_b32 v0, v0, v5 :: v_dual_ashrrev_i32 v3, 31, v10
	v_add_nc_u32_e32 v5, 1, v2
	s_delay_alu instid0(VALU_DEP_2) | instskip(NEXT) | instid1(VALU_DEP_2)
	v_cmp_le_u32_e32 vcc_lo, s33, v0
	v_dual_cndmask_b32 v0, v2, v5, vcc_lo :: v_dual_bitop2_b32 v3, s17, v3 bitop3:0x14
	s_delay_alu instid0(VALU_DEP_1) | instskip(NEXT) | instid1(VALU_DEP_1)
	v_xor_b32_e32 v0, v0, v3
	v_sub_nc_u32_e32 v5, v0, v3
	s_delay_alu instid0(VALU_DEP_1) | instskip(NEXT) | instid1(VALU_DEP_1)
	v_mul_lo_u32 v0, v5, s6
	v_sub_nc_u32_e32 v0, v10, v0
	s_delay_alu instid0(VALU_DEP_1) | instskip(NEXT) | instid1(VALU_DEP_1)
	v_mul_lo_u32 v6, v0, s4
	v_sub_nc_u32_e32 v0, 0, v6
	s_delay_alu instid0(VALU_DEP_1) | instskip(NEXT) | instid1(VALU_DEP_1)
	v_max_i32_e32 v0, v6, v0
	v_mul_u64_e32 v[2:3], s[20:21], v[0:1]
	s_delay_alu instid0(VALU_DEP_1) | instskip(NEXT) | instid1(VALU_DEP_1)
	v_mul_lo_u32 v2, v3, s33
	v_dual_sub_nc_u32 v0, v0, v2 :: v_dual_add_nc_u32 v2, 1, v3
	s_delay_alu instid0(VALU_DEP_1) | instskip(NEXT) | instid1(VALU_DEP_2)
	v_cmp_le_u32_e32 vcc_lo, s33, v0
	v_cndmask_b32_e32 v2, v3, v2, vcc_lo
	v_ashrrev_i32_e32 v3, 31, v6
	s_delay_alu instid0(VALU_DEP_2) | instskip(SKIP_1) | instid1(VALU_DEP_1)
	v_add_nc_u32_e32 v6, 1, v2
	v_subrev_nc_u32_e32 v7, s33, v0
	v_cndmask_b32_e32 v0, v0, v7, vcc_lo
	s_delay_alu instid0(VALU_DEP_1) | instskip(NEXT) | instid1(VALU_DEP_4)
	v_cmp_le_u32_e32 vcc_lo, s33, v0
	v_dual_cndmask_b32 v0, v2, v6, vcc_lo :: v_dual_bitop2_b32 v3, s17, v3 bitop3:0x14
	v_mul_lo_u32 v6, v10, s7
	s_delay_alu instid0(VALU_DEP_2) | instskip(NEXT) | instid1(VALU_DEP_1)
	v_xor_b32_e32 v0, v0, v3
	v_dual_sub_nc_u32 v0, v0, v3 :: v_dual_ashrrev_i32 v7, 31, v6
	s_delay_alu instid0(VALU_DEP_1) | instskip(NEXT) | instid1(VALU_DEP_1)
	v_mad_u32 v0, v5, s4, v0
	v_mad_nc_u64_u32 v[2:3], s14, v0, s[8:9]
	v_sub_nc_u32_e32 v13, v4, v0
	s_delay_alu instid0(VALU_DEP_4) | instskip(NEXT) | instid1(VALU_DEP_3)
	v_lshl_add_u64 v[4:5], v[6:7], 2, s[10:11]
	v_mad_u32 v3, s15, v0, v3
	s_delay_alu instid0(VALU_DEP_3) | instskip(SKIP_1) | instid1(VALU_DEP_2)
	v_dual_ashrrev_i32 v0, 31, v0 :: v_dual_add_nc_u32 v8, 1, v13
	v_cmp_gt_u32_e64 s1, 0x7fffffff, v13
	v_cvt_f32_i32_e32 v14, v8
	s_delay_alu instid0(VALU_DEP_3)
	v_mad_u32 v3, s14, v0, v3
	v_mov_b32_e32 v0, v11
	s_branch .LBB5_11
.LBB5_9:                                ;   in Loop: Header=BB5_11 Depth=2
	s_or_b32 exec_lo, exec_lo, s29
.LBB5_10:                               ;   in Loop: Header=BB5_11 Depth=2
	s_delay_alu instid0(SALU_CYCLE_1) | instskip(SKIP_2) | instid1(VALU_DEP_2)
	s_or_b32 exec_lo, exec_lo, s28
	v_div_scale_f32 v6, null, v14, v14, v16
	v_div_scale_f32 v9, vcc_lo, v16, v14, v16
	v_rcp_f32_e32 v7, v6
	v_nop
	s_delay_alu instid0(TRANS32_DEP_1) | instskip(NEXT) | instid1(VALU_DEP_1)
	v_fma_f32 v8, -v6, v7, 1.0
	v_fmac_f32_e32 v7, v8, v7
	s_delay_alu instid0(VALU_DEP_1) | instskip(NEXT) | instid1(VALU_DEP_1)
	v_mul_f32_e32 v8, v9, v7
	v_fma_f32 v17, -v6, v8, v9
	s_delay_alu instid0(VALU_DEP_1) | instskip(NEXT) | instid1(VALU_DEP_1)
	v_fmac_f32_e32 v8, v17, v7
	v_dual_fma_f32 v6, -v6, v8, v9 :: v_dual_add_nc_u32 v9, 1, v15
	s_delay_alu instid0(VALU_DEP_1) | instskip(NEXT) | instid1(VALU_DEP_2)
	v_div_fmas_f32 v6, v6, v7, v8
	v_cvt_f32_i32_e32 v8, v9
	s_delay_alu instid0(VALU_DEP_2) | instskip(NEXT) | instid1(VALU_DEP_1)
	v_div_fixup_f32 v9, v6, v14, v16
	v_div_scale_f32 v6, null, v8, v8, v9
	s_delay_alu instid0(VALU_DEP_1) | instskip(SKIP_1) | instid1(TRANS32_DEP_1)
	v_rcp_f32_e32 v15, v6
	v_nop
	v_fma_f32 v7, -v6, v15, 1.0
	s_delay_alu instid0(VALU_DEP_1) | instskip(SKIP_1) | instid1(VALU_DEP_1)
	v_fmac_f32_e32 v15, v7, v15
	v_div_scale_f32 v7, vcc_lo, v9, v8, v9
	v_mul_f32_e32 v16, v7, v15
	s_delay_alu instid0(VALU_DEP_1) | instskip(NEXT) | instid1(VALU_DEP_1)
	v_fma_f32 v17, -v6, v16, v7
	v_fmac_f32_e32 v16, v17, v15
	s_delay_alu instid0(VALU_DEP_1) | instskip(SKIP_2) | instid1(VALU_DEP_3)
	v_fma_f32 v17, -v6, v16, v7
	v_lshl_add_u64 v[6:7], v[0:1], 2, v[4:5]
	v_add_nc_u32_e32 v0, s36, v0
	v_div_fmas_f32 v15, v17, v15, v16
	s_delay_alu instid0(VALU_DEP_2) | instskip(NEXT) | instid1(VALU_DEP_2)
	v_cmp_le_i32_e32 vcc_lo, s7, v0
	v_div_fixup_f32 v8, v15, v8, v9
	s_or_b32 s40, vcc_lo, s40
	global_store_b32 v[6:7], v8, off
	s_wait_xcnt 0x0
	s_and_not1_b32 exec_lo, exec_lo, s40
	s_cbranch_execz .LBB5_2
.LBB5_11:                               ;   Parent Loop BB5_3 Depth=1
                                        ; =>  This Loop Header: Depth=2
                                        ;       Child Loop BB5_18 Depth 3
                                        ;         Child Loop BB5_20 Depth 4
	s_delay_alu instid0(VALU_DEP_1) | instskip(NEXT) | instid1(VALU_DEP_1)
	v_add_nc_u32_e32 v8, 1, v0
	v_mad_nc_u64_u32 v[6:7], v8, s38, -1
	s_delay_alu instid0(VALU_DEP_1) | instskip(NEXT) | instid1(VALU_DEP_1)
	v_mad_u32 v7, v8, s37, v7
	v_dual_mov_b32 v8, v1 :: v_dual_bitop2_b32 v9, s19, v7 bitop3:0x54
	s_delay_alu instid0(VALU_DEP_1) | instskip(SKIP_1) | instid1(SALU_CYCLE_1)
	v_cmp_ne_u64_e32 vcc_lo, 0, v[8:9]
                                        ; implicit-def: $vgpr8_vgpr9
	s_and_saveexec_b32 s2, vcc_lo
	s_xor_b32 s41, exec_lo, s2
	s_cbranch_execz .LBB5_13
; %bb.12:                               ;   in Loop: Header=BB5_11 Depth=2
	s_ashr_i32 s28, s19, 31
	v_dual_mov_b32 v17, v1 :: v_dual_ashrrev_i32 v8, 31, v7
	s_mov_b32 s29, s28
	s_delay_alu instid0(SALU_CYCLE_1) | instskip(NEXT) | instid1(VALU_DEP_1)
	s_add_nc_u64 s[30:31], s[18:19], s[28:29]
	v_mov_b32_e32 v9, v8
	s_xor_b64 s[30:31], s[30:31], s[28:29]
	s_delay_alu instid0(SALU_CYCLE_1)
	s_cvt_f32_u32 s2, s30
	s_cvt_f32_u32 s29, s31
	s_sub_nc_u64 s[44:45], 0, s[30:31]
	v_add_nc_u64_e32 v[6:7], v[6:7], v[8:9]
	v_mov_b32_e32 v21, v1
	s_fmamk_f32 s2, s29, 0x4f800000, s2
	s_delay_alu instid0(SALU_CYCLE_3) | instskip(NEXT) | instid1(VALU_DEP_2)
	v_s_rcp_f32 s2, s2
	v_xor_b32_e32 v16, v6, v8
	s_delay_alu instid0(VALU_DEP_3) | instskip(NEXT) | instid1(TRANS32_DEP_1)
	v_dual_mov_b32 v25, v1 :: v_dual_bitop2_b32 v20, v7, v8 bitop3:0x14
	s_mul_f32 s2, s2, 0x5f7ffffc
	s_delay_alu instid0(SALU_CYCLE_3) | instskip(NEXT) | instid1(SALU_CYCLE_3)
	s_mul_f32 s29, s2, 0x2f800000
	s_trunc_f32 s29, s29
	s_delay_alu instid0(SALU_CYCLE_3) | instskip(SKIP_1) | instid1(SALU_CYCLE_2)
	s_fmamk_f32 s2, s29, 0xcf800000, s2
	s_cvt_u32_f32 s43, s29
	s_cvt_u32_f32 s42, s2
	s_delay_alu instid0(SALU_CYCLE_3) | instskip(NEXT) | instid1(SALU_CYCLE_1)
	s_mul_u64 s[46:47], s[44:45], s[42:43]
	s_mul_hi_u32 s49, s42, s47
	s_mul_i32 s48, s42, s47
	s_mul_hi_u32 s2, s42, s46
	s_mul_i32 s50, s43, s46
	s_add_nc_u64 s[48:49], s[2:3], s[48:49]
	s_mul_hi_u32 s29, s43, s46
	s_mul_hi_u32 s51, s43, s47
	s_add_co_u32 s2, s48, s50
	s_add_co_ci_u32 s2, s49, s29
	s_mul_i32 s46, s43, s47
	s_add_co_ci_u32 s47, s51, 0
	s_delay_alu instid0(SALU_CYCLE_1) | instskip(NEXT) | instid1(SALU_CYCLE_1)
	s_add_nc_u64 s[46:47], s[2:3], s[46:47]
	s_add_co_u32 s42, s42, s46
	s_cselect_b32 s2, -1, 0
	s_delay_alu instid0(SALU_CYCLE_1) | instskip(SKIP_1) | instid1(SALU_CYCLE_1)
	s_cmp_lg_u32 s2, 0
	s_add_co_ci_u32 s43, s43, s47
	s_mul_u64 s[44:45], s[44:45], s[42:43]
	s_delay_alu instid0(SALU_CYCLE_1)
	s_mul_hi_u32 s47, s42, s45
	s_mul_i32 s46, s42, s45
	s_mul_hi_u32 s2, s42, s44
	s_mul_i32 s48, s43, s44
	s_add_nc_u64 s[46:47], s[2:3], s[46:47]
	s_mul_hi_u32 s29, s43, s44
	s_mul_hi_u32 s49, s43, s45
	s_add_co_u32 s2, s46, s48
	s_add_co_ci_u32 s2, s47, s29
	s_mul_i32 s44, s43, s45
	s_add_co_ci_u32 s45, s49, 0
	s_delay_alu instid0(SALU_CYCLE_1) | instskip(NEXT) | instid1(SALU_CYCLE_1)
	s_add_nc_u64 s[44:45], s[2:3], s[44:45]
	s_add_co_u32 s42, s42, s44
	s_cselect_b32 s2, -1, 0
	v_mul_hi_u32 v24, v16, s42
	s_cmp_lg_u32 s2, 0
	s_add_co_ci_u32 s2, s43, s45
	s_and_b64 s[44:45], s[42:43], s[22:23]
	v_mul_u64_e32 v[18:19], s[2:3], v[16:17]
	v_mul_u64_e32 v[6:7], s[44:45], v[20:21]
	;; [unrolled: 1-line block ×3, first 2 shown]
	s_delay_alu instid0(VALU_DEP_3) | instskip(NEXT) | instid1(VALU_DEP_1)
	v_add_nc_u64_e32 v[18:19], v[24:25], v[18:19]
	v_add_co_u32 v6, vcc_lo, v18, v6
	s_delay_alu instid0(VALU_DEP_2) | instskip(NEXT) | instid1(VALU_DEP_4)
	v_add_co_ci_u32_e32 v24, vcc_lo, v19, v7, vcc_lo
	v_add_co_ci_u32_e32 v23, vcc_lo, 0, v23, vcc_lo
	s_delay_alu instid0(VALU_DEP_1) | instskip(NEXT) | instid1(VALU_DEP_1)
	v_add_nc_u64_e32 v[6:7], v[24:25], v[22:23]
	v_mul_u64_e32 v[18:19], s[30:31], v[6:7]
	s_delay_alu instid0(VALU_DEP_1) | instskip(NEXT) | instid1(VALU_DEP_2)
	v_sub_nc_u32_e32 v9, v20, v19
	v_sub_co_u32 v15, vcc_lo, v16, v18
	s_delay_alu instid0(VALU_DEP_1) | instskip(NEXT) | instid1(VALU_DEP_3)
	v_sub_co_ci_u32_e64 v20, null, v20, v19, vcc_lo
	v_subrev_co_ci_u32_e64 v9, null, s31, v9, vcc_lo
	s_delay_alu instid0(VALU_DEP_3) | instskip(SKIP_1) | instid1(VALU_DEP_3)
	v_sub_co_u32 v16, s2, v15, s30
	v_add_nc_u64_e32 v[18:19], 1, v[6:7]
	v_subrev_co_ci_u32_e64 v9, null, 0, v9, s2
	s_delay_alu instid0(VALU_DEP_3) | instskip(SKIP_1) | instid1(VALU_DEP_3)
	v_cmp_le_u32_e32 vcc_lo, s30, v16
	v_cndmask_b32_e64 v16, 0, -1, vcc_lo
	v_cmp_le_u32_e32 vcc_lo, s31, v9
	v_cndmask_b32_e64 v17, 0, -1, vcc_lo
	v_cmp_le_u32_e32 vcc_lo, s30, v15
	v_cndmask_b32_e64 v15, 0, -1, vcc_lo
	v_cmp_le_u32_e32 vcc_lo, s31, v20
	v_cndmask_b32_e64 v21, 0, -1, vcc_lo
	v_cmp_eq_u32_e32 vcc_lo, s31, v9
	v_cndmask_b32_e32 v9, v17, v16, vcc_lo
	v_cmp_eq_u32_e32 vcc_lo, s31, v20
	v_add_nc_u64_e32 v[16:17], 2, v[6:7]
	v_cndmask_b32_e32 v15, v21, v15, vcc_lo
	s_delay_alu instid0(VALU_DEP_4) | instskip(NEXT) | instid1(VALU_DEP_3)
	v_cmp_ne_u32_e32 vcc_lo, 0, v9
	v_cndmask_b32_e32 v9, v19, v17, vcc_lo
	s_delay_alu instid0(VALU_DEP_3) | instskip(SKIP_1) | instid1(VALU_DEP_2)
	v_cmp_ne_u32_e64 s2, 0, v15
	v_cndmask_b32_e32 v15, v18, v16, vcc_lo
	v_dual_cndmask_b32 v7, v7, v9, s2 :: v_dual_bitop2_b32 v8, s28, v8 bitop3:0x14
	s_delay_alu instid0(VALU_DEP_1) | instskip(NEXT) | instid1(VALU_DEP_2)
	v_dual_cndmask_b32 v6, v6, v15, s2 :: v_dual_mov_b32 v9, v8
	v_xor_b32_e32 v7, v7, v8
	s_delay_alu instid0(VALU_DEP_2) | instskip(NEXT) | instid1(VALU_DEP_1)
	v_xor_b32_e32 v6, v6, v8
	v_sub_nc_u64_e32 v[8:9], v[6:7], v[8:9]
                                        ; implicit-def: $vgpr6_vgpr7
.LBB5_13:                               ;   in Loop: Header=BB5_11 Depth=2
	s_and_not1_saveexec_b32 s2, s41
	s_cbranch_execz .LBB5_15
; %bb.14:                               ;   in Loop: Header=BB5_11 Depth=2
	v_cvt_f32_u32_e32 v7, s18
	s_sub_co_i32 s28, 0, s18
	s_delay_alu instid0(VALU_DEP_1) | instskip(SKIP_1) | instid1(TRANS32_DEP_1)
	v_rcp_iflag_f32_e32 v7, v7
	v_nop
	v_mul_f32_e32 v7, 0x4f7ffffe, v7
	s_delay_alu instid0(VALU_DEP_1) | instskip(NEXT) | instid1(VALU_DEP_1)
	v_cvt_u32_f32_e32 v7, v7
	v_mul_lo_u32 v8, s28, v7
	s_delay_alu instid0(VALU_DEP_1) | instskip(NEXT) | instid1(VALU_DEP_1)
	v_mul_hi_u32 v8, v7, v8
	v_add_nc_u32_e32 v7, v7, v8
	s_delay_alu instid0(VALU_DEP_1) | instskip(NEXT) | instid1(VALU_DEP_1)
	v_mul_hi_u32 v7, v6, v7
	v_mul_lo_u32 v8, v7, s18
	s_delay_alu instid0(VALU_DEP_1) | instskip(NEXT) | instid1(VALU_DEP_1)
	v_dual_sub_nc_u32 v6, v6, v8 :: v_dual_add_nc_u32 v8, 1, v7
	v_subrev_nc_u32_e32 v9, s18, v6
	v_cmp_le_u32_e32 vcc_lo, s18, v6
	s_delay_alu instid0(VALU_DEP_2) | instskip(NEXT) | instid1(VALU_DEP_1)
	v_dual_cndmask_b32 v6, v6, v9 :: v_dual_cndmask_b32 v7, v7, v8
	v_cmp_le_u32_e32 vcc_lo, s18, v6
	s_delay_alu instid0(VALU_DEP_2) | instskip(NEXT) | instid1(VALU_DEP_1)
	v_add_nc_u32_e32 v8, 1, v7
	v_cndmask_b32_e32 v8, v7, v8, vcc_lo
.LBB5_15:                               ;   in Loop: Header=BB5_11 Depth=2
	s_or_b32 exec_lo, exec_lo, s2
	v_mul_u64_e32 v[6:7], s[12:13], v[0:1]
	v_mul_lo_u32 v9, v0, s5
	s_delay_alu instid0(VALU_DEP_1) | instskip(NEXT) | instid1(VALU_DEP_1)
	v_dual_mov_b32 v17, v1 :: v_dual_sub_nc_u32 v6, 0, v9
	v_dual_ashrrev_i32 v9, 31, v9 :: v_dual_max_i32 v16, v9, v6
	s_delay_alu instid0(VALU_DEP_4) | instskip(NEXT) | instid1(VALU_DEP_1)
	v_mul_lo_u32 v6, v7, s35
	v_sub_nc_u32_e32 v6, v0, v6
	s_delay_alu instid0(VALU_DEP_3) | instskip(NEXT) | instid1(VALU_DEP_2)
	v_mul_u64_e32 v[18:19], s[12:13], v[16:17]
	v_subrev_nc_u32_e32 v18, s35, v6
	v_cmp_le_u32_e32 vcc_lo, s35, v6
	s_delay_alu instid0(VALU_DEP_2) | instskip(NEXT) | instid1(VALU_DEP_4)
	v_dual_cndmask_b32 v6, v6, v18 :: v_dual_add_nc_u32 v15, 1, v7
	v_mul_lo_u32 v17, v19, s35
	s_delay_alu instid0(VALU_DEP_2) | instskip(NEXT) | instid1(VALU_DEP_3)
	v_cndmask_b32_e32 v7, v7, v15, vcc_lo
	v_cmp_le_u32_e32 vcc_lo, s35, v6
	s_delay_alu instid0(VALU_DEP_2) | instskip(NEXT) | instid1(VALU_DEP_1)
	v_dual_sub_nc_u32 v16, v16, v17 :: v_dual_add_nc_u32 v15, 1, v7
	v_cndmask_b32_e32 v6, v7, v15, vcc_lo
	v_add_nc_u32_e32 v17, 1, v19
	s_delay_alu instid0(VALU_DEP_3) | instskip(SKIP_1) | instid1(VALU_DEP_3)
	v_subrev_nc_u32_e32 v7, s35, v16
	v_cmp_le_u32_e32 vcc_lo, s35, v16
	v_dual_cndmask_b32 v15, v19, v17, vcc_lo :: v_dual_bitop2_b32 v6, s19, v6 bitop3:0x14
	s_delay_alu instid0(VALU_DEP_3) | instskip(NEXT) | instid1(VALU_DEP_2)
	v_cndmask_b32_e32 v7, v16, v7, vcc_lo
	v_subrev_nc_u32_e32 v6, s19, v6
	s_delay_alu instid0(VALU_DEP_3) | instskip(NEXT) | instid1(VALU_DEP_3)
	v_add_nc_u32_e32 v16, 1, v15
	v_cmp_le_u32_e32 vcc_lo, s35, v7
	v_xor_b32_e32 v9, s19, v9
	s_delay_alu instid0(VALU_DEP_4) | instskip(NEXT) | instid1(VALU_DEP_4)
	v_mul_lo_u32 v18, v6, s5
	v_dual_cndmask_b32 v7, v15, v16 :: v_dual_mov_b32 v16, 0
	s_delay_alu instid0(VALU_DEP_1) | instskip(NEXT) | instid1(VALU_DEP_1)
	v_xor_b32_e32 v17, v7, v9
	v_sub_nc_u32_e32 v6, v17, v9
	s_delay_alu instid0(VALU_DEP_1) | instskip(NEXT) | instid1(VALU_DEP_1)
	v_add_nc_u32_e32 v19, v6, v18
	v_sub_nc_u32_e32 v15, v8, v19
	s_and_saveexec_b32 s28, s1
	s_cbranch_execz .LBB5_10
; %bb.16:                               ;   in Loop: Header=BB5_11 Depth=2
	v_mad_nc_u64_u32 v[6:7], s24, v19, v[2:3]
	v_dual_add_nc_u32 v8, v9, v8 :: v_dual_ashrrev_i32 v9, 31, v19
	s_mov_b32 s29, 0
	s_mov_b32 s30, 0
	s_delay_alu instid0(VALU_DEP_1) | instskip(SKIP_1) | instid1(VALU_DEP_2)
	v_dual_mov_b32 v16, 0 :: v_dual_sub_nc_u32 v8, v8, v18
	v_cmp_gt_u32_e32 vcc_lo, 0x7fffffff, v15
	v_sub_nc_u32_e32 v8, v8, v17
	v_mad_u32 v7, s25, v19, v7
	s_delay_alu instid0(VALU_DEP_2) | instskip(NEXT) | instid1(VALU_DEP_2)
	v_add_nc_u32_e32 v17, 1, v8
	v_mad_u32 v7, s24, v9, v7
	s_branch .LBB5_18
.LBB5_17:                               ;   in Loop: Header=BB5_18 Depth=3
	s_or_b32 exec_lo, exec_lo, s31
	v_cmp_eq_u32_e64 s2, s30, v13
	s_delay_alu instid0(VALU_DEP_2) | instskip(SKIP_2) | instid1(SALU_CYCLE_1)
	v_add_nc_u64_e32 v[6:7], s[14:15], v[6:7]
	s_add_co_i32 s30, s30, 1
	s_or_b32 s29, s2, s29
	s_and_not1_b32 exec_lo, exec_lo, s29
	s_cbranch_execz .LBB5_9
.LBB5_18:                               ;   Parent Loop BB5_3 Depth=1
                                        ;     Parent Loop BB5_11 Depth=2
                                        ; =>    This Loop Header: Depth=3
                                        ;         Child Loop BB5_20 Depth 4
	s_and_saveexec_b32 s31, vcc_lo
	s_cbranch_execz .LBB5_17
; %bb.19:                               ;   in Loop: Header=BB5_18 Depth=3
	s_delay_alu instid0(VALU_DEP_1)
	v_mov_b64_e32 v[8:9], v[6:7]
	v_mov_b32_e32 v18, v17
	s_mov_b32 s41, 0
.LBB5_20:                               ;   Parent Loop BB5_3 Depth=1
                                        ;     Parent Loop BB5_11 Depth=2
                                        ;       Parent Loop BB5_18 Depth=3
                                        ; =>      This Inner Loop Header: Depth=4
	global_load_b32 v19, v[8:9], off
	v_add_nc_u32_e32 v18, -1, v18
	s_wait_xcnt 0x0
	v_add_nc_u64_e32 v[8:9], s[24:25], v[8:9]
	s_wait_loadcnt 0x0
	v_add_f32_e32 v16, v16, v19
	v_cmp_eq_u32_e64 s2, 0, v18
	s_or_b32 s41, s2, s41
	s_delay_alu instid0(SALU_CYCLE_1)
	s_and_not1_b32 exec_lo, exec_lo, s41
	s_cbranch_execnz .LBB5_20
; %bb.21:                               ;   in Loop: Header=BB5_18 Depth=3
	s_or_b32 exec_lo, exec_lo, s41
	s_branch .LBB5_17
.LBB5_22:
	s_endpgm
	.section	.rodata,"a",@progbits
	.p2align	6, 0x0
	.amdhsa_kernel _ZN2at6native12_GLOBAL__N_121adaptive_average_poolIfEEvPKT_PS3_iiiilll
		.amdhsa_group_segment_fixed_size 0
		.amdhsa_private_segment_fixed_size 0
		.amdhsa_kernarg_size 312
		.amdhsa_user_sgpr_count 2
		.amdhsa_user_sgpr_dispatch_ptr 0
		.amdhsa_user_sgpr_queue_ptr 0
		.amdhsa_user_sgpr_kernarg_segment_ptr 1
		.amdhsa_user_sgpr_dispatch_id 0
		.amdhsa_user_sgpr_kernarg_preload_length 0
		.amdhsa_user_sgpr_kernarg_preload_offset 0
		.amdhsa_user_sgpr_private_segment_size 0
		.amdhsa_wavefront_size32 1
		.amdhsa_uses_dynamic_stack 0
		.amdhsa_enable_private_segment 0
		.amdhsa_system_sgpr_workgroup_id_x 1
		.amdhsa_system_sgpr_workgroup_id_y 1
		.amdhsa_system_sgpr_workgroup_id_z 0
		.amdhsa_system_sgpr_workgroup_info 0
		.amdhsa_system_vgpr_workitem_id 1
		.amdhsa_next_free_vgpr 26
		.amdhsa_next_free_sgpr 52
		.amdhsa_named_barrier_count 0
		.amdhsa_reserve_vcc 1
		.amdhsa_float_round_mode_32 0
		.amdhsa_float_round_mode_16_64 0
		.amdhsa_float_denorm_mode_32 3
		.amdhsa_float_denorm_mode_16_64 3
		.amdhsa_fp16_overflow 0
		.amdhsa_memory_ordered 1
		.amdhsa_forward_progress 1
		.amdhsa_inst_pref_size 24
		.amdhsa_round_robin_scheduling 0
		.amdhsa_exception_fp_ieee_invalid_op 0
		.amdhsa_exception_fp_denorm_src 0
		.amdhsa_exception_fp_ieee_div_zero 0
		.amdhsa_exception_fp_ieee_overflow 0
		.amdhsa_exception_fp_ieee_underflow 0
		.amdhsa_exception_fp_ieee_inexact 0
		.amdhsa_exception_int_div_zero 0
	.end_amdhsa_kernel
	.section	.text._ZN2at6native12_GLOBAL__N_121adaptive_average_poolIfEEvPKT_PS3_iiiilll,"axG",@progbits,_ZN2at6native12_GLOBAL__N_121adaptive_average_poolIfEEvPKT_PS3_iiiilll,comdat
.Lfunc_end5:
	.size	_ZN2at6native12_GLOBAL__N_121adaptive_average_poolIfEEvPKT_PS3_iiiilll, .Lfunc_end5-_ZN2at6native12_GLOBAL__N_121adaptive_average_poolIfEEvPKT_PS3_iiiilll
                                        ; -- End function
	.set _ZN2at6native12_GLOBAL__N_121adaptive_average_poolIfEEvPKT_PS3_iiiilll.num_vgpr, 26
	.set _ZN2at6native12_GLOBAL__N_121adaptive_average_poolIfEEvPKT_PS3_iiiilll.num_agpr, 0
	.set _ZN2at6native12_GLOBAL__N_121adaptive_average_poolIfEEvPKT_PS3_iiiilll.numbered_sgpr, 52
	.set _ZN2at6native12_GLOBAL__N_121adaptive_average_poolIfEEvPKT_PS3_iiiilll.num_named_barrier, 0
	.set _ZN2at6native12_GLOBAL__N_121adaptive_average_poolIfEEvPKT_PS3_iiiilll.private_seg_size, 0
	.set _ZN2at6native12_GLOBAL__N_121adaptive_average_poolIfEEvPKT_PS3_iiiilll.uses_vcc, 1
	.set _ZN2at6native12_GLOBAL__N_121adaptive_average_poolIfEEvPKT_PS3_iiiilll.uses_flat_scratch, 0
	.set _ZN2at6native12_GLOBAL__N_121adaptive_average_poolIfEEvPKT_PS3_iiiilll.has_dyn_sized_stack, 0
	.set _ZN2at6native12_GLOBAL__N_121adaptive_average_poolIfEEvPKT_PS3_iiiilll.has_recursion, 0
	.set _ZN2at6native12_GLOBAL__N_121adaptive_average_poolIfEEvPKT_PS3_iiiilll.has_indirect_call, 0
	.section	.AMDGPU.csdata,"",@progbits
; Kernel info:
; codeLenInByte = 3016
; TotalNumSgprs: 54
; NumVgprs: 26
; ScratchSize: 0
; MemoryBound: 0
; FloatMode: 240
; IeeeMode: 1
; LDSByteSize: 0 bytes/workgroup (compile time only)
; SGPRBlocks: 0
; VGPRBlocks: 1
; NumSGPRsForWavesPerEU: 54
; NumVGPRsForWavesPerEU: 26
; NamedBarCnt: 0
; Occupancy: 16
; WaveLimiterHint : 0
; COMPUTE_PGM_RSRC2:SCRATCH_EN: 0
; COMPUTE_PGM_RSRC2:USER_SGPR: 2
; COMPUTE_PGM_RSRC2:TRAP_HANDLER: 0
; COMPUTE_PGM_RSRC2:TGID_X_EN: 1
; COMPUTE_PGM_RSRC2:TGID_Y_EN: 1
; COMPUTE_PGM_RSRC2:TGID_Z_EN: 0
; COMPUTE_PGM_RSRC2:TIDIG_COMP_CNT: 1
	.section	.text._ZN2at6native12_GLOBAL__N_121adaptive_average_poolIN3c104HalfEEEvPKT_PS5_iiiilll,"axG",@progbits,_ZN2at6native12_GLOBAL__N_121adaptive_average_poolIN3c104HalfEEEvPKT_PS5_iiiilll,comdat
	.globl	_ZN2at6native12_GLOBAL__N_121adaptive_average_poolIN3c104HalfEEEvPKT_PS5_iiiilll ; -- Begin function _ZN2at6native12_GLOBAL__N_121adaptive_average_poolIN3c104HalfEEEvPKT_PS5_iiiilll
	.p2align	8
	.type	_ZN2at6native12_GLOBAL__N_121adaptive_average_poolIN3c104HalfEEEvPKT_PS5_iiiilll,@function
_ZN2at6native12_GLOBAL__N_121adaptive_average_poolIN3c104HalfEEEvPKT_PS5_iiiilll: ; @_ZN2at6native12_GLOBAL__N_121adaptive_average_poolIN3c104HalfEEEvPKT_PS5_iiiilll
; %bb.0:
	s_clause 0x1
	s_load_b32 s2, s[0:1], 0x44
	s_load_b128 s[4:7], s[0:1], 0x10
	s_bfe_u32 s3, ttmp6, 0x40010
	s_bfe_u32 s8, ttmp6, 0x40004
	s_add_co_i32 s3, s3, 1
	s_getreg_b32 s16, hwreg(HW_REG_IB_STS2, 6, 4)
	s_mul_i32 s3, ttmp7, s3
	v_bfe_u32 v1, v0, 10, 10
	s_add_co_i32 s8, s8, s3
	s_wait_kmcnt 0x0
	s_lshr_b32 s17, s2, 16
	s_cmp_eq_u32 s16, 0
	s_cselect_b32 s3, ttmp7, s8
	s_mov_b32 s8, exec_lo
	v_mad_u32 v10, s3, s17, v1
	s_mov_b32 s3, 0
	s_delay_alu instid0(VALU_DEP_1)
	v_cmpx_gt_i32_e64 s6, v10
	s_cbranch_execz .LBB6_22
; %bb.1:
	s_load_b128 s[8:11], s[0:1], 0x0
	s_bfe_u32 s14, ttmp6, 0x4000c
	s_and_b32 s18, ttmp6, 15
	s_add_co_i32 s14, s14, 1
	s_add_nc_u64 s[12:13], s[0:1], 56
	s_mul_i32 s19, ttmp9, s14
	s_load_b32 s34, s[12:13], 0x4
	s_add_co_i32 s18, s18, s19
	s_cmp_eq_u32 s16, 0
	s_mov_b32 s16, s6
	s_cselect_b32 s22, ttmp9, s18
	v_cvt_f32_u32_e32 v1, s16
	s_wait_xcnt 0x0
	s_clause 0x1
	s_load_b128 s[12:15], s[0:1], 0x20
	s_load_b64 s[24:25], s[0:1], 0x30
	s_wait_xcnt 0x0
	s_mul_i32 s0, s6, s22
	s_abs_i32 s33, s6
	s_mul_i32 s0, s0, s7
	v_rcp_iflag_f32_e32 v1, v1
	s_cvt_f32_u32 s18, s33
	s_ashr_i32 s1, s0, 31
	s_abs_i32 s35, s7
	s_lshl_b64 s[0:1], s[0:1], 1
	v_rcp_iflag_f32_e32 v2, s18
	s_wait_kmcnt 0x0
	s_add_nc_u64 s[10:11], s[10:11], s[0:1]
	s_cvt_f32_u32 s0, s35
	v_mul_f32_e32 v1, 0x4f7ffffe, v1
	v_and_b32_e32 v11, 0x3ff, v0
	s_sub_co_i32 s18, 0, s6
	v_rcp_iflag_f32_e32 v0, s0
	v_readfirstlane_b32 s1, v2
	v_cvt_u32_f32_e32 v2, v1
	s_and_b32 s36, s2, 0xffff
	s_ashr_i32 s23, s22, 31
	v_cmp_gt_i32_e64 s0, s7, v11
	s_mul_f32 s1, s1, 0x4f7ffffe
	v_readfirstlane_b32 s2, v0
	v_mul_lo_u32 v0, s18, v2
	s_sub_co_i32 s18, 0, s33
	s_cvt_u32_f32 s1, s1
	s_mul_u64 s[22:23], s[12:13], s[22:23]
	s_mul_f32 s2, s2, 0x4f7ffffe
	v_mov_b32_e32 v1, 0
	s_mul_i32 s20, s18, s1
	s_mul_i32 s34, s34, s17
	s_mul_hi_u32 s20, s1, s20
	s_cvt_u32_f32 s2, s2
	s_add_co_i32 s20, s1, s20
	v_mul_hi_u32 v0, v2, v0
	s_sub_co_i32 s1, 0, s35
	s_ashr_i32 s17, s6, 31
	s_mul_i32 s1, s1, s2
	s_lshl_b64 s[22:23], s[22:23], 1
	s_mul_hi_u32 s1, s2, s1
	s_ashr_i32 s37, s5, 31
	s_mov_b32 s38, s5
	s_ashr_i32 s19, s7, 31
	s_mov_b32 s18, s7
	s_mov_b32 s21, s3
	v_add_nc_u32_e32 v12, v2, v0
	s_add_co_i32 s12, s2, s1
	s_mov_b32 s13, s3
	s_add_nc_u64 s[8:9], s[8:9], s[22:23]
	s_lshl_b64 s[14:15], s[14:15], 1
	s_mov_b64 s[22:23], 0xffffffff
	s_lshl_b64 s[24:25], s[24:25], 1
	s_ashr_i32 s26, s17, 31
	s_mov_b32 s39, 0
	s_branch .LBB6_3
.LBB6_2:                                ;   in Loop: Header=BB6_3 Depth=1
	s_or_b32 exec_lo, exec_lo, s27
	v_add_nc_u32_e32 v10, s34, v10
	s_delay_alu instid0(VALU_DEP_1) | instskip(SKIP_1) | instid1(SALU_CYCLE_1)
	v_cmp_le_i32_e32 vcc_lo, s6, v10
	s_or_b32 s39, vcc_lo, s39
	s_and_not1_b32 exec_lo, exec_lo, s39
	s_cbranch_execz .LBB6_22
.LBB6_3:                                ; =>This Loop Header: Depth=1
                                        ;     Child Loop BB6_11 Depth 2
                                        ;       Child Loop BB6_18 Depth 3
                                        ;         Child Loop BB6_20 Depth 4
	v_dual_add_nc_u32 v0, 1, v10 :: v_dual_mov_b32 v4, v1
	s_delay_alu instid0(VALU_DEP_1) | instskip(NEXT) | instid1(VALU_DEP_1)
	v_mad_nc_i64_i32 v[2:3], v0, s4, -1
	v_or_b32_e32 v5, s17, v3
	s_delay_alu instid0(VALU_DEP_1) | instskip(SKIP_1) | instid1(SALU_CYCLE_1)
	v_cmp_ne_u64_e32 vcc_lo, 0, v[4:5]
                                        ; implicit-def: $vgpr4_vgpr5
	s_and_saveexec_b32 s1, vcc_lo
	s_xor_b32 s30, exec_lo, s1
	s_cbranch_execnz .LBB6_6
; %bb.4:                                ;   in Loop: Header=BB6_3 Depth=1
	s_and_not1_saveexec_b32 s1, s30
	s_cbranch_execnz .LBB6_7
.LBB6_5:                                ;   in Loop: Header=BB6_3 Depth=1
	s_or_b32 exec_lo, exec_lo, s1
	s_and_saveexec_b32 s27, s0
	s_cbranch_execz .LBB6_2
	s_branch .LBB6_8
.LBB6_6:                                ;   in Loop: Header=BB6_3 Depth=1
	s_mov_b32 s27, s26
	v_dual_mov_b32 v9, v1 :: v_dual_ashrrev_i32 v4, 31, v3
	s_add_nc_u64 s[28:29], s[16:17], s[26:27]
	v_mov_b32_e32 v17, v1
	s_xor_b64 s[28:29], s[28:29], s[26:27]
	s_delay_alu instid0(VALU_DEP_2) | instskip(SKIP_3) | instid1(VALU_DEP_1)
	v_mov_b32_e32 v5, v4
	s_cvt_f32_u32 s1, s28
	s_cvt_f32_u32 s2, s29
	s_sub_nc_u64 s[42:43], 0, s[28:29]
	v_add_nc_u64_e32 v[2:3], v[2:3], v[4:5]
	s_delay_alu instid0(SALU_CYCLE_1) | instskip(NEXT) | instid1(SALU_CYCLE_3)
	s_fmamk_f32 s1, s2, 0x4f800000, s1
	v_s_rcp_f32 s1, s1
	s_delay_alu instid0(VALU_DEP_1) | instskip(NEXT) | instid1(VALU_DEP_2)
	v_xor_b32_e32 v0, v2, v4
	v_xor_b32_e32 v8, v3, v4
	;; [unrolled: 1-line block ×3, first 2 shown]
	s_delay_alu instid0(TRANS32_DEP_1) | instskip(NEXT) | instid1(SALU_CYCLE_3)
	s_mul_f32 s1, s1, 0x5f7ffffc
	s_mul_f32 s2, s1, 0x2f800000
	s_delay_alu instid0(SALU_CYCLE_3) | instskip(NEXT) | instid1(SALU_CYCLE_3)
	s_trunc_f32 s2, s2
	s_fmamk_f32 s1, s2, 0xcf800000, s1
	s_cvt_u32_f32 s41, s2
	s_delay_alu instid0(SALU_CYCLE_2) | instskip(NEXT) | instid1(SALU_CYCLE_3)
	s_cvt_u32_f32 s40, s1
	s_mul_u64 s[44:45], s[42:43], s[40:41]
	s_delay_alu instid0(SALU_CYCLE_1)
	s_mul_hi_u32 s47, s40, s45
	s_mul_i32 s46, s40, s45
	s_mul_hi_u32 s2, s40, s44
	s_mul_i32 s27, s41, s44
	s_add_nc_u64 s[46:47], s[2:3], s[46:47]
	s_mul_hi_u32 s1, s41, s44
	s_mul_hi_u32 s31, s41, s45
	s_add_co_u32 s2, s46, s27
	s_add_co_ci_u32 s2, s47, s1
	s_mul_i32 s44, s41, s45
	s_add_co_ci_u32 s45, s31, 0
	s_delay_alu instid0(SALU_CYCLE_1) | instskip(NEXT) | instid1(SALU_CYCLE_1)
	s_add_nc_u64 s[44:45], s[2:3], s[44:45]
	s_add_co_u32 s40, s40, s44
	s_cselect_b32 s1, -1, 0
	s_delay_alu instid0(SALU_CYCLE_1) | instskip(SKIP_1) | instid1(SALU_CYCLE_1)
	s_cmp_lg_u32 s1, 0
	s_add_co_ci_u32 s41, s41, s45
	s_mul_u64 s[42:43], s[42:43], s[40:41]
	s_delay_alu instid0(SALU_CYCLE_1)
	s_mul_hi_u32 s45, s40, s43
	s_mul_i32 s44, s40, s43
	s_mul_hi_u32 s2, s40, s42
	s_mul_i32 s27, s41, s42
	s_add_nc_u64 s[44:45], s[2:3], s[44:45]
	s_mul_hi_u32 s1, s41, s42
	s_mul_hi_u32 s31, s41, s43
	s_add_co_u32 s2, s44, s27
	s_add_co_ci_u32 s2, s45, s1
	s_mul_i32 s42, s41, s43
	s_add_co_ci_u32 s43, s31, 0
	s_delay_alu instid0(SALU_CYCLE_1) | instskip(NEXT) | instid1(SALU_CYCLE_1)
	s_add_nc_u64 s[42:43], s[2:3], s[42:43]
	s_add_co_u32 s40, s40, s42
	s_cselect_b32 s1, -1, 0
	v_mul_hi_u32 v16, v0, s40
	s_cmp_lg_u32 s1, 0
	s_add_co_ci_u32 s2, s41, s43
	s_and_b64 s[42:43], s[40:41], s[22:23]
	v_mul_u64_e32 v[6:7], s[2:3], v[0:1]
	v_mul_u64_e32 v[2:3], s[42:43], v[8:9]
	v_mul_u64_e32 v[14:15], s[2:3], v[8:9]
	s_delay_alu instid0(VALU_DEP_3) | instskip(NEXT) | instid1(VALU_DEP_1)
	v_add_nc_u64_e32 v[6:7], v[16:17], v[6:7]
	v_add_co_u32 v2, vcc_lo, v6, v2
	s_delay_alu instid0(VALU_DEP_2) | instskip(NEXT) | instid1(VALU_DEP_4)
	v_add_co_ci_u32_e32 v16, vcc_lo, v7, v3, vcc_lo
	v_add_co_ci_u32_e32 v15, vcc_lo, 0, v15, vcc_lo
	s_delay_alu instid0(VALU_DEP_1) | instskip(NEXT) | instid1(VALU_DEP_1)
	v_add_nc_u64_e32 v[2:3], v[16:17], v[14:15]
	v_mul_u64_e32 v[6:7], s[28:29], v[2:3]
	s_delay_alu instid0(VALU_DEP_1) | instskip(NEXT) | instid1(VALU_DEP_2)
	v_sub_nc_u32_e32 v5, v8, v7
	v_sub_co_u32 v0, vcc_lo, v0, v6
	s_delay_alu instid0(VALU_DEP_1) | instskip(NEXT) | instid1(VALU_DEP_3)
	v_sub_co_ci_u32_e64 v13, null, v8, v7, vcc_lo
	v_subrev_co_ci_u32_e64 v5, null, s29, v5, vcc_lo
	s_delay_alu instid0(VALU_DEP_3) | instskip(SKIP_1) | instid1(VALU_DEP_3)
	v_sub_co_u32 v6, s1, v0, s28
	v_add_nc_u64_e32 v[8:9], 1, v[2:3]
	v_subrev_co_ci_u32_e64 v5, null, 0, v5, s1
	s_delay_alu instid0(VALU_DEP_3) | instskip(SKIP_1) | instid1(VALU_DEP_3)
	v_cmp_le_u32_e32 vcc_lo, s28, v6
	v_cndmask_b32_e64 v6, 0, -1, vcc_lo
	v_cmp_le_u32_e32 vcc_lo, s29, v5
	v_cndmask_b32_e64 v7, 0, -1, vcc_lo
	;; [unrolled: 2-line block ×4, first 2 shown]
	v_cmp_eq_u32_e32 vcc_lo, s29, v5
	v_cndmask_b32_e32 v5, v7, v6, vcc_lo
	v_cmp_eq_u32_e32 vcc_lo, s29, v13
	v_add_nc_u64_e32 v[6:7], 2, v[2:3]
	v_cndmask_b32_e32 v0, v14, v0, vcc_lo
	s_delay_alu instid0(VALU_DEP_4) | instskip(NEXT) | instid1(VALU_DEP_2)
	v_cmp_ne_u32_e32 vcc_lo, 0, v5
	v_cmp_ne_u32_e64 s1, 0, v0
	s_delay_alu instid0(VALU_DEP_4) | instskip(NEXT) | instid1(VALU_DEP_1)
	v_dual_cndmask_b32 v5, v9, v7 :: v_dual_cndmask_b32 v0, v8, v6
	v_dual_cndmask_b32 v3, v3, v5, s1 :: v_dual_cndmask_b32 v0, v2, v0, s1
	s_delay_alu instid0(VALU_DEP_1) | instskip(NEXT) | instid1(VALU_DEP_2)
	v_dual_mov_b32 v5, v4 :: v_dual_bitop2_b32 v3, v3, v4 bitop3:0x14
	v_xor_b32_e32 v2, v0, v4
	s_delay_alu instid0(VALU_DEP_1)
	v_sub_nc_u64_e32 v[4:5], v[2:3], v[4:5]
                                        ; implicit-def: $vgpr2_vgpr3
	s_and_not1_saveexec_b32 s1, s30
	s_cbranch_execz .LBB6_5
.LBB6_7:                                ;   in Loop: Header=BB6_3 Depth=1
	s_delay_alu instid0(VALU_DEP_3) | instskip(NEXT) | instid1(VALU_DEP_1)
	v_mul_hi_u32 v0, v2, v12
	v_mul_lo_u32 v3, v0, s16
	s_delay_alu instid0(VALU_DEP_1) | instskip(NEXT) | instid1(VALU_DEP_1)
	v_dual_sub_nc_u32 v2, v2, v3 :: v_dual_add_nc_u32 v3, 1, v0
	v_subrev_nc_u32_e32 v4, s16, v2
	v_cmp_le_u32_e32 vcc_lo, s16, v2
	s_delay_alu instid0(VALU_DEP_2) | instskip(NEXT) | instid1(VALU_DEP_1)
	v_dual_cndmask_b32 v2, v2, v4, vcc_lo :: v_dual_cndmask_b32 v0, v0, v3, vcc_lo
	v_cmp_le_u32_e32 vcc_lo, s16, v2
	s_delay_alu instid0(VALU_DEP_2) | instskip(NEXT) | instid1(VALU_DEP_1)
	v_add_nc_u32_e32 v3, 1, v0
	v_cndmask_b32_e32 v4, v0, v3, vcc_lo
	s_or_b32 exec_lo, exec_lo, s1
	s_and_saveexec_b32 s27, s0
	s_cbranch_execz .LBB6_2
.LBB6_8:                                ;   in Loop: Header=BB6_3 Depth=1
	v_sub_nc_u32_e32 v0, 0, v10
	s_mov_b32 s40, 0
	s_delay_alu instid0(VALU_DEP_1) | instskip(NEXT) | instid1(VALU_DEP_1)
	v_max_i32_e32 v0, v10, v0
	v_mul_u64_e32 v[2:3], s[20:21], v[0:1]
	s_delay_alu instid0(VALU_DEP_1) | instskip(NEXT) | instid1(VALU_DEP_1)
	v_mul_lo_u32 v2, v3, s33
	v_dual_sub_nc_u32 v0, v0, v2 :: v_dual_add_nc_u32 v2, 1, v3
	s_delay_alu instid0(VALU_DEP_1) | instskip(SKIP_1) | instid1(VALU_DEP_3)
	v_subrev_nc_u32_e32 v5, s33, v0
	v_cmp_le_u32_e32 vcc_lo, s33, v0
	v_cndmask_b32_e32 v2, v3, v2, vcc_lo
	s_delay_alu instid0(VALU_DEP_3) | instskip(NEXT) | instid1(VALU_DEP_2)
	v_dual_cndmask_b32 v0, v0, v5 :: v_dual_ashrrev_i32 v3, 31, v10
	v_add_nc_u32_e32 v5, 1, v2
	s_delay_alu instid0(VALU_DEP_2) | instskip(NEXT) | instid1(VALU_DEP_2)
	v_cmp_le_u32_e32 vcc_lo, s33, v0
	v_dual_cndmask_b32 v0, v2, v5, vcc_lo :: v_dual_bitop2_b32 v3, s17, v3 bitop3:0x14
	s_delay_alu instid0(VALU_DEP_1) | instskip(NEXT) | instid1(VALU_DEP_1)
	v_xor_b32_e32 v0, v0, v3
	v_sub_nc_u32_e32 v5, v0, v3
	s_delay_alu instid0(VALU_DEP_1) | instskip(NEXT) | instid1(VALU_DEP_1)
	v_mul_lo_u32 v0, v5, s6
	v_sub_nc_u32_e32 v0, v10, v0
	s_delay_alu instid0(VALU_DEP_1) | instskip(NEXT) | instid1(VALU_DEP_1)
	v_mul_lo_u32 v6, v0, s4
	v_sub_nc_u32_e32 v0, 0, v6
	s_delay_alu instid0(VALU_DEP_1) | instskip(NEXT) | instid1(VALU_DEP_1)
	v_max_i32_e32 v0, v6, v0
	v_mul_u64_e32 v[2:3], s[20:21], v[0:1]
	s_delay_alu instid0(VALU_DEP_1) | instskip(NEXT) | instid1(VALU_DEP_1)
	v_mul_lo_u32 v2, v3, s33
	v_dual_sub_nc_u32 v0, v0, v2 :: v_dual_add_nc_u32 v2, 1, v3
	s_delay_alu instid0(VALU_DEP_1) | instskip(NEXT) | instid1(VALU_DEP_2)
	v_cmp_le_u32_e32 vcc_lo, s33, v0
	v_cndmask_b32_e32 v2, v3, v2, vcc_lo
	v_ashrrev_i32_e32 v3, 31, v6
	s_delay_alu instid0(VALU_DEP_2) | instskip(SKIP_1) | instid1(VALU_DEP_1)
	v_add_nc_u32_e32 v6, 1, v2
	v_subrev_nc_u32_e32 v7, s33, v0
	v_cndmask_b32_e32 v0, v0, v7, vcc_lo
	s_delay_alu instid0(VALU_DEP_1) | instskip(NEXT) | instid1(VALU_DEP_4)
	v_cmp_le_u32_e32 vcc_lo, s33, v0
	v_dual_cndmask_b32 v0, v2, v6, vcc_lo :: v_dual_bitop2_b32 v3, s17, v3 bitop3:0x14
	v_mul_lo_u32 v6, v10, s7
	s_delay_alu instid0(VALU_DEP_2) | instskip(NEXT) | instid1(VALU_DEP_1)
	v_xor_b32_e32 v0, v0, v3
	v_dual_sub_nc_u32 v0, v0, v3 :: v_dual_ashrrev_i32 v7, 31, v6
	s_delay_alu instid0(VALU_DEP_1) | instskip(NEXT) | instid1(VALU_DEP_1)
	v_mad_u32 v0, v5, s4, v0
	v_mad_nc_u64_u32 v[2:3], s14, v0, s[8:9]
	v_sub_nc_u32_e32 v13, v4, v0
	s_delay_alu instid0(VALU_DEP_4) | instskip(NEXT) | instid1(VALU_DEP_3)
	v_lshl_add_u64 v[4:5], v[6:7], 1, s[10:11]
	v_mad_u32 v3, s15, v0, v3
	s_delay_alu instid0(VALU_DEP_3) | instskip(SKIP_1) | instid1(VALU_DEP_2)
	v_dual_ashrrev_i32 v0, 31, v0 :: v_dual_add_nc_u32 v8, 1, v13
	v_cmp_gt_u32_e64 s1, 0x7fffffff, v13
	v_cvt_f32_i32_e32 v14, v8
	s_delay_alu instid0(VALU_DEP_3)
	v_mad_u32 v3, s14, v0, v3
	v_mov_b32_e32 v0, v11
	s_branch .LBB6_11
.LBB6_9:                                ;   in Loop: Header=BB6_11 Depth=2
	s_or_b32 exec_lo, exec_lo, s29
.LBB6_10:                               ;   in Loop: Header=BB6_11 Depth=2
	s_delay_alu instid0(SALU_CYCLE_1) | instskip(SKIP_2) | instid1(VALU_DEP_2)
	s_or_b32 exec_lo, exec_lo, s28
	v_div_scale_f32 v6, null, v14, v14, v16
	v_div_scale_f32 v9, vcc_lo, v16, v14, v16
	v_rcp_f32_e32 v7, v6
	v_nop
	s_delay_alu instid0(TRANS32_DEP_1) | instskip(NEXT) | instid1(VALU_DEP_1)
	v_fma_f32 v8, -v6, v7, 1.0
	v_fmac_f32_e32 v7, v8, v7
	s_delay_alu instid0(VALU_DEP_1) | instskip(NEXT) | instid1(VALU_DEP_1)
	v_mul_f32_e32 v8, v9, v7
	v_fma_f32 v17, -v6, v8, v9
	s_delay_alu instid0(VALU_DEP_1) | instskip(NEXT) | instid1(VALU_DEP_1)
	v_fmac_f32_e32 v8, v17, v7
	v_dual_fma_f32 v6, -v6, v8, v9 :: v_dual_add_nc_u32 v9, 1, v15
	s_delay_alu instid0(VALU_DEP_1) | instskip(NEXT) | instid1(VALU_DEP_2)
	v_div_fmas_f32 v6, v6, v7, v8
	v_cvt_f32_i32_e32 v8, v9
	s_delay_alu instid0(VALU_DEP_2) | instskip(NEXT) | instid1(VALU_DEP_1)
	v_div_fixup_f32 v9, v6, v14, v16
	v_div_scale_f32 v6, null, v8, v8, v9
	s_delay_alu instid0(VALU_DEP_1) | instskip(SKIP_1) | instid1(TRANS32_DEP_1)
	v_rcp_f32_e32 v7, v6
	v_nop
	v_fma_f32 v15, -v6, v7, 1.0
	s_delay_alu instid0(VALU_DEP_1) | instskip(SKIP_1) | instid1(VALU_DEP_1)
	v_fmac_f32_e32 v7, v15, v7
	v_div_scale_f32 v15, vcc_lo, v9, v8, v9
	v_mul_f32_e32 v16, v15, v7
	s_delay_alu instid0(VALU_DEP_1) | instskip(NEXT) | instid1(VALU_DEP_1)
	v_fma_f32 v17, -v6, v16, v15
	v_fmac_f32_e32 v16, v17, v7
	s_delay_alu instid0(VALU_DEP_1) | instskip(NEXT) | instid1(VALU_DEP_1)
	v_fma_f32 v6, -v6, v16, v15
	v_div_fmas_f32 v15, v6, v7, v16
	v_lshl_add_u64 v[6:7], v[0:1], 1, v[4:5]
	v_add_nc_u32_e32 v0, s36, v0
	s_delay_alu instid0(VALU_DEP_3) | instskip(NEXT) | instid1(VALU_DEP_2)
	v_div_fixup_f32 v8, v15, v8, v9
	v_cmp_le_i32_e32 vcc_lo, s7, v0
	s_delay_alu instid0(VALU_DEP_2)
	v_cvt_f16_f32_e32 v8, v8
	s_or_b32 s40, vcc_lo, s40
	global_store_b16 v[6:7], v8, off
	s_wait_xcnt 0x0
	s_and_not1_b32 exec_lo, exec_lo, s40
	s_cbranch_execz .LBB6_2
.LBB6_11:                               ;   Parent Loop BB6_3 Depth=1
                                        ; =>  This Loop Header: Depth=2
                                        ;       Child Loop BB6_18 Depth 3
                                        ;         Child Loop BB6_20 Depth 4
	s_delay_alu instid0(VALU_DEP_1) | instskip(NEXT) | instid1(VALU_DEP_1)
	v_add_nc_u32_e32 v8, 1, v0
	v_mad_nc_u64_u32 v[6:7], v8, s38, -1
	s_delay_alu instid0(VALU_DEP_1) | instskip(NEXT) | instid1(VALU_DEP_1)
	v_mad_u32 v7, v8, s37, v7
	v_dual_mov_b32 v8, v1 :: v_dual_bitop2_b32 v9, s19, v7 bitop3:0x54
	s_delay_alu instid0(VALU_DEP_1) | instskip(SKIP_1) | instid1(SALU_CYCLE_1)
	v_cmp_ne_u64_e32 vcc_lo, 0, v[8:9]
                                        ; implicit-def: $vgpr8_vgpr9
	s_and_saveexec_b32 s2, vcc_lo
	s_xor_b32 s41, exec_lo, s2
	s_cbranch_execz .LBB6_13
; %bb.12:                               ;   in Loop: Header=BB6_11 Depth=2
	s_ashr_i32 s28, s19, 31
	v_dual_mov_b32 v17, v1 :: v_dual_ashrrev_i32 v8, 31, v7
	s_mov_b32 s29, s28
	s_delay_alu instid0(SALU_CYCLE_1) | instskip(NEXT) | instid1(VALU_DEP_1)
	s_add_nc_u64 s[30:31], s[18:19], s[28:29]
	v_mov_b32_e32 v9, v8
	s_xor_b64 s[30:31], s[30:31], s[28:29]
	s_delay_alu instid0(SALU_CYCLE_1)
	s_cvt_f32_u32 s2, s30
	s_cvt_f32_u32 s29, s31
	s_sub_nc_u64 s[44:45], 0, s[30:31]
	v_add_nc_u64_e32 v[6:7], v[6:7], v[8:9]
	v_mov_b32_e32 v21, v1
	s_fmamk_f32 s2, s29, 0x4f800000, s2
	s_delay_alu instid0(SALU_CYCLE_3) | instskip(NEXT) | instid1(VALU_DEP_2)
	v_s_rcp_f32 s2, s2
	v_xor_b32_e32 v16, v6, v8
	s_delay_alu instid0(VALU_DEP_3) | instskip(NEXT) | instid1(TRANS32_DEP_1)
	v_dual_mov_b32 v25, v1 :: v_dual_bitop2_b32 v20, v7, v8 bitop3:0x14
	s_mul_f32 s2, s2, 0x5f7ffffc
	s_delay_alu instid0(SALU_CYCLE_3) | instskip(NEXT) | instid1(SALU_CYCLE_3)
	s_mul_f32 s29, s2, 0x2f800000
	s_trunc_f32 s29, s29
	s_delay_alu instid0(SALU_CYCLE_3) | instskip(SKIP_1) | instid1(SALU_CYCLE_2)
	s_fmamk_f32 s2, s29, 0xcf800000, s2
	s_cvt_u32_f32 s43, s29
	s_cvt_u32_f32 s42, s2
	s_delay_alu instid0(SALU_CYCLE_3) | instskip(NEXT) | instid1(SALU_CYCLE_1)
	s_mul_u64 s[46:47], s[44:45], s[42:43]
	s_mul_hi_u32 s49, s42, s47
	s_mul_i32 s48, s42, s47
	s_mul_hi_u32 s2, s42, s46
	s_mul_i32 s50, s43, s46
	s_add_nc_u64 s[48:49], s[2:3], s[48:49]
	s_mul_hi_u32 s29, s43, s46
	s_mul_hi_u32 s51, s43, s47
	s_add_co_u32 s2, s48, s50
	s_add_co_ci_u32 s2, s49, s29
	s_mul_i32 s46, s43, s47
	s_add_co_ci_u32 s47, s51, 0
	s_delay_alu instid0(SALU_CYCLE_1) | instskip(NEXT) | instid1(SALU_CYCLE_1)
	s_add_nc_u64 s[46:47], s[2:3], s[46:47]
	s_add_co_u32 s42, s42, s46
	s_cselect_b32 s2, -1, 0
	s_delay_alu instid0(SALU_CYCLE_1) | instskip(SKIP_1) | instid1(SALU_CYCLE_1)
	s_cmp_lg_u32 s2, 0
	s_add_co_ci_u32 s43, s43, s47
	s_mul_u64 s[44:45], s[44:45], s[42:43]
	s_delay_alu instid0(SALU_CYCLE_1)
	s_mul_hi_u32 s47, s42, s45
	s_mul_i32 s46, s42, s45
	s_mul_hi_u32 s2, s42, s44
	s_mul_i32 s48, s43, s44
	s_add_nc_u64 s[46:47], s[2:3], s[46:47]
	s_mul_hi_u32 s29, s43, s44
	s_mul_hi_u32 s49, s43, s45
	s_add_co_u32 s2, s46, s48
	s_add_co_ci_u32 s2, s47, s29
	s_mul_i32 s44, s43, s45
	s_add_co_ci_u32 s45, s49, 0
	s_delay_alu instid0(SALU_CYCLE_1) | instskip(NEXT) | instid1(SALU_CYCLE_1)
	s_add_nc_u64 s[44:45], s[2:3], s[44:45]
	s_add_co_u32 s42, s42, s44
	s_cselect_b32 s2, -1, 0
	v_mul_hi_u32 v24, v16, s42
	s_cmp_lg_u32 s2, 0
	s_add_co_ci_u32 s2, s43, s45
	s_and_b64 s[44:45], s[42:43], s[22:23]
	v_mul_u64_e32 v[18:19], s[2:3], v[16:17]
	v_mul_u64_e32 v[6:7], s[44:45], v[20:21]
	v_mul_u64_e32 v[22:23], s[2:3], v[20:21]
	s_delay_alu instid0(VALU_DEP_3) | instskip(NEXT) | instid1(VALU_DEP_1)
	v_add_nc_u64_e32 v[18:19], v[24:25], v[18:19]
	v_add_co_u32 v6, vcc_lo, v18, v6
	s_delay_alu instid0(VALU_DEP_2) | instskip(NEXT) | instid1(VALU_DEP_4)
	v_add_co_ci_u32_e32 v24, vcc_lo, v19, v7, vcc_lo
	v_add_co_ci_u32_e32 v23, vcc_lo, 0, v23, vcc_lo
	s_delay_alu instid0(VALU_DEP_1) | instskip(NEXT) | instid1(VALU_DEP_1)
	v_add_nc_u64_e32 v[6:7], v[24:25], v[22:23]
	v_mul_u64_e32 v[18:19], s[30:31], v[6:7]
	s_delay_alu instid0(VALU_DEP_1) | instskip(NEXT) | instid1(VALU_DEP_2)
	v_sub_nc_u32_e32 v9, v20, v19
	v_sub_co_u32 v15, vcc_lo, v16, v18
	s_delay_alu instid0(VALU_DEP_1) | instskip(NEXT) | instid1(VALU_DEP_3)
	v_sub_co_ci_u32_e64 v20, null, v20, v19, vcc_lo
	v_subrev_co_ci_u32_e64 v9, null, s31, v9, vcc_lo
	s_delay_alu instid0(VALU_DEP_3) | instskip(SKIP_1) | instid1(VALU_DEP_3)
	v_sub_co_u32 v16, s2, v15, s30
	v_add_nc_u64_e32 v[18:19], 1, v[6:7]
	v_subrev_co_ci_u32_e64 v9, null, 0, v9, s2
	s_delay_alu instid0(VALU_DEP_3) | instskip(SKIP_1) | instid1(VALU_DEP_3)
	v_cmp_le_u32_e32 vcc_lo, s30, v16
	v_cndmask_b32_e64 v16, 0, -1, vcc_lo
	v_cmp_le_u32_e32 vcc_lo, s31, v9
	v_cndmask_b32_e64 v17, 0, -1, vcc_lo
	v_cmp_le_u32_e32 vcc_lo, s30, v15
	v_cndmask_b32_e64 v15, 0, -1, vcc_lo
	v_cmp_le_u32_e32 vcc_lo, s31, v20
	v_cndmask_b32_e64 v21, 0, -1, vcc_lo
	v_cmp_eq_u32_e32 vcc_lo, s31, v9
	v_cndmask_b32_e32 v9, v17, v16, vcc_lo
	v_cmp_eq_u32_e32 vcc_lo, s31, v20
	v_add_nc_u64_e32 v[16:17], 2, v[6:7]
	v_cndmask_b32_e32 v15, v21, v15, vcc_lo
	s_delay_alu instid0(VALU_DEP_4) | instskip(NEXT) | instid1(VALU_DEP_3)
	v_cmp_ne_u32_e32 vcc_lo, 0, v9
	v_cndmask_b32_e32 v9, v19, v17, vcc_lo
	s_delay_alu instid0(VALU_DEP_3) | instskip(SKIP_1) | instid1(VALU_DEP_2)
	v_cmp_ne_u32_e64 s2, 0, v15
	v_cndmask_b32_e32 v15, v18, v16, vcc_lo
	v_dual_cndmask_b32 v7, v7, v9, s2 :: v_dual_bitop2_b32 v8, s28, v8 bitop3:0x14
	s_delay_alu instid0(VALU_DEP_1) | instskip(NEXT) | instid1(VALU_DEP_2)
	v_dual_cndmask_b32 v6, v6, v15, s2 :: v_dual_mov_b32 v9, v8
	v_xor_b32_e32 v7, v7, v8
	s_delay_alu instid0(VALU_DEP_2) | instskip(NEXT) | instid1(VALU_DEP_1)
	v_xor_b32_e32 v6, v6, v8
	v_sub_nc_u64_e32 v[8:9], v[6:7], v[8:9]
                                        ; implicit-def: $vgpr6_vgpr7
.LBB6_13:                               ;   in Loop: Header=BB6_11 Depth=2
	s_and_not1_saveexec_b32 s2, s41
	s_cbranch_execz .LBB6_15
; %bb.14:                               ;   in Loop: Header=BB6_11 Depth=2
	v_cvt_f32_u32_e32 v7, s18
	s_sub_co_i32 s28, 0, s18
	s_delay_alu instid0(VALU_DEP_1) | instskip(SKIP_1) | instid1(TRANS32_DEP_1)
	v_rcp_iflag_f32_e32 v7, v7
	v_nop
	v_mul_f32_e32 v7, 0x4f7ffffe, v7
	s_delay_alu instid0(VALU_DEP_1) | instskip(NEXT) | instid1(VALU_DEP_1)
	v_cvt_u32_f32_e32 v7, v7
	v_mul_lo_u32 v8, s28, v7
	s_delay_alu instid0(VALU_DEP_1) | instskip(NEXT) | instid1(VALU_DEP_1)
	v_mul_hi_u32 v8, v7, v8
	v_add_nc_u32_e32 v7, v7, v8
	s_delay_alu instid0(VALU_DEP_1) | instskip(NEXT) | instid1(VALU_DEP_1)
	v_mul_hi_u32 v7, v6, v7
	v_mul_lo_u32 v8, v7, s18
	s_delay_alu instid0(VALU_DEP_1) | instskip(NEXT) | instid1(VALU_DEP_1)
	v_dual_sub_nc_u32 v6, v6, v8 :: v_dual_add_nc_u32 v8, 1, v7
	v_subrev_nc_u32_e32 v9, s18, v6
	v_cmp_le_u32_e32 vcc_lo, s18, v6
	s_delay_alu instid0(VALU_DEP_2) | instskip(NEXT) | instid1(VALU_DEP_1)
	v_dual_cndmask_b32 v6, v6, v9 :: v_dual_cndmask_b32 v7, v7, v8
	v_cmp_le_u32_e32 vcc_lo, s18, v6
	s_delay_alu instid0(VALU_DEP_2) | instskip(NEXT) | instid1(VALU_DEP_1)
	v_add_nc_u32_e32 v8, 1, v7
	v_cndmask_b32_e32 v8, v7, v8, vcc_lo
.LBB6_15:                               ;   in Loop: Header=BB6_11 Depth=2
	s_or_b32 exec_lo, exec_lo, s2
	v_mul_u64_e32 v[6:7], s[12:13], v[0:1]
	v_mul_lo_u32 v9, v0, s5
	s_delay_alu instid0(VALU_DEP_1) | instskip(NEXT) | instid1(VALU_DEP_1)
	v_dual_mov_b32 v17, v1 :: v_dual_sub_nc_u32 v6, 0, v9
	v_dual_ashrrev_i32 v9, 31, v9 :: v_dual_max_i32 v16, v9, v6
	s_delay_alu instid0(VALU_DEP_4) | instskip(NEXT) | instid1(VALU_DEP_1)
	v_mul_lo_u32 v6, v7, s35
	v_sub_nc_u32_e32 v6, v0, v6
	s_delay_alu instid0(VALU_DEP_3) | instskip(NEXT) | instid1(VALU_DEP_2)
	v_mul_u64_e32 v[18:19], s[12:13], v[16:17]
	v_subrev_nc_u32_e32 v18, s35, v6
	v_cmp_le_u32_e32 vcc_lo, s35, v6
	s_delay_alu instid0(VALU_DEP_2) | instskip(NEXT) | instid1(VALU_DEP_4)
	v_dual_cndmask_b32 v6, v6, v18 :: v_dual_add_nc_u32 v15, 1, v7
	v_mul_lo_u32 v17, v19, s35
	s_delay_alu instid0(VALU_DEP_2) | instskip(NEXT) | instid1(VALU_DEP_3)
	v_cndmask_b32_e32 v7, v7, v15, vcc_lo
	v_cmp_le_u32_e32 vcc_lo, s35, v6
	s_delay_alu instid0(VALU_DEP_2) | instskip(NEXT) | instid1(VALU_DEP_1)
	v_dual_sub_nc_u32 v16, v16, v17 :: v_dual_add_nc_u32 v15, 1, v7
	v_cndmask_b32_e32 v6, v7, v15, vcc_lo
	v_add_nc_u32_e32 v17, 1, v19
	s_delay_alu instid0(VALU_DEP_3) | instskip(SKIP_1) | instid1(VALU_DEP_3)
	v_subrev_nc_u32_e32 v7, s35, v16
	v_cmp_le_u32_e32 vcc_lo, s35, v16
	v_dual_cndmask_b32 v15, v19, v17, vcc_lo :: v_dual_bitop2_b32 v6, s19, v6 bitop3:0x14
	s_delay_alu instid0(VALU_DEP_3) | instskip(NEXT) | instid1(VALU_DEP_2)
	v_cndmask_b32_e32 v7, v16, v7, vcc_lo
	v_subrev_nc_u32_e32 v6, s19, v6
	s_delay_alu instid0(VALU_DEP_3) | instskip(NEXT) | instid1(VALU_DEP_3)
	v_add_nc_u32_e32 v16, 1, v15
	v_cmp_le_u32_e32 vcc_lo, s35, v7
	v_xor_b32_e32 v9, s19, v9
	s_delay_alu instid0(VALU_DEP_4) | instskip(NEXT) | instid1(VALU_DEP_4)
	v_mul_lo_u32 v18, v6, s5
	v_dual_cndmask_b32 v7, v15, v16 :: v_dual_mov_b32 v16, 0
	s_delay_alu instid0(VALU_DEP_1) | instskip(NEXT) | instid1(VALU_DEP_1)
	v_xor_b32_e32 v17, v7, v9
	v_sub_nc_u32_e32 v6, v17, v9
	s_delay_alu instid0(VALU_DEP_1) | instskip(NEXT) | instid1(VALU_DEP_1)
	v_add_nc_u32_e32 v19, v6, v18
	v_sub_nc_u32_e32 v15, v8, v19
	s_and_saveexec_b32 s28, s1
	s_cbranch_execz .LBB6_10
; %bb.16:                               ;   in Loop: Header=BB6_11 Depth=2
	v_mad_nc_u64_u32 v[6:7], s24, v19, v[2:3]
	v_dual_add_nc_u32 v8, v9, v8 :: v_dual_ashrrev_i32 v9, 31, v19
	s_mov_b32 s29, 0
	s_mov_b32 s30, 0
	s_delay_alu instid0(VALU_DEP_1) | instskip(SKIP_1) | instid1(VALU_DEP_2)
	v_dual_mov_b32 v16, 0 :: v_dual_sub_nc_u32 v8, v8, v18
	v_cmp_gt_u32_e32 vcc_lo, 0x7fffffff, v15
	v_sub_nc_u32_e32 v8, v8, v17
	v_mad_u32 v7, s25, v19, v7
	s_delay_alu instid0(VALU_DEP_2) | instskip(NEXT) | instid1(VALU_DEP_2)
	v_add_nc_u32_e32 v17, 1, v8
	v_mad_u32 v7, s24, v9, v7
	s_branch .LBB6_18
.LBB6_17:                               ;   in Loop: Header=BB6_18 Depth=3
	s_or_b32 exec_lo, exec_lo, s31
	v_cmp_eq_u32_e64 s2, s30, v13
	s_delay_alu instid0(VALU_DEP_2) | instskip(SKIP_2) | instid1(SALU_CYCLE_1)
	v_add_nc_u64_e32 v[6:7], s[14:15], v[6:7]
	s_add_co_i32 s30, s30, 1
	s_or_b32 s29, s2, s29
	s_and_not1_b32 exec_lo, exec_lo, s29
	s_cbranch_execz .LBB6_9
.LBB6_18:                               ;   Parent Loop BB6_3 Depth=1
                                        ;     Parent Loop BB6_11 Depth=2
                                        ; =>    This Loop Header: Depth=3
                                        ;         Child Loop BB6_20 Depth 4
	s_and_saveexec_b32 s31, vcc_lo
	s_cbranch_execz .LBB6_17
; %bb.19:                               ;   in Loop: Header=BB6_18 Depth=3
	s_delay_alu instid0(VALU_DEP_1)
	v_mov_b64_e32 v[8:9], v[6:7]
	v_mov_b32_e32 v18, v17
	s_mov_b32 s41, 0
.LBB6_20:                               ;   Parent Loop BB6_3 Depth=1
                                        ;     Parent Loop BB6_11 Depth=2
                                        ;       Parent Loop BB6_18 Depth=3
                                        ; =>      This Inner Loop Header: Depth=4
	global_load_u16 v19, v[8:9], off
	s_wait_xcnt 0x0
	v_add_nc_u64_e32 v[8:9], s[24:25], v[8:9]
	s_wait_loadcnt 0x0
	v_cvt_f32_f16_e32 v19, v19
	s_delay_alu instid0(VALU_DEP_1) | instskip(NEXT) | instid1(VALU_DEP_1)
	v_dual_add_nc_u32 v18, -1, v18 :: v_dual_add_f32 v16, v16, v19
	v_cmp_eq_u32_e64 s2, 0, v18
	s_or_b32 s41, s2, s41
	s_delay_alu instid0(SALU_CYCLE_1)
	s_and_not1_b32 exec_lo, exec_lo, s41
	s_cbranch_execnz .LBB6_20
; %bb.21:                               ;   in Loop: Header=BB6_18 Depth=3
	s_or_b32 exec_lo, exec_lo, s41
	s_branch .LBB6_17
.LBB6_22:
	s_endpgm
	.section	.rodata,"a",@progbits
	.p2align	6, 0x0
	.amdhsa_kernel _ZN2at6native12_GLOBAL__N_121adaptive_average_poolIN3c104HalfEEEvPKT_PS5_iiiilll
		.amdhsa_group_segment_fixed_size 0
		.amdhsa_private_segment_fixed_size 0
		.amdhsa_kernarg_size 312
		.amdhsa_user_sgpr_count 2
		.amdhsa_user_sgpr_dispatch_ptr 0
		.amdhsa_user_sgpr_queue_ptr 0
		.amdhsa_user_sgpr_kernarg_segment_ptr 1
		.amdhsa_user_sgpr_dispatch_id 0
		.amdhsa_user_sgpr_kernarg_preload_length 0
		.amdhsa_user_sgpr_kernarg_preload_offset 0
		.amdhsa_user_sgpr_private_segment_size 0
		.amdhsa_wavefront_size32 1
		.amdhsa_uses_dynamic_stack 0
		.amdhsa_enable_private_segment 0
		.amdhsa_system_sgpr_workgroup_id_x 1
		.amdhsa_system_sgpr_workgroup_id_y 1
		.amdhsa_system_sgpr_workgroup_id_z 0
		.amdhsa_system_sgpr_workgroup_info 0
		.amdhsa_system_vgpr_workitem_id 1
		.amdhsa_next_free_vgpr 26
		.amdhsa_next_free_sgpr 52
		.amdhsa_named_barrier_count 0
		.amdhsa_reserve_vcc 1
		.amdhsa_float_round_mode_32 0
		.amdhsa_float_round_mode_16_64 0
		.amdhsa_float_denorm_mode_32 3
		.amdhsa_float_denorm_mode_16_64 3
		.amdhsa_fp16_overflow 0
		.amdhsa_memory_ordered 1
		.amdhsa_forward_progress 1
		.amdhsa_inst_pref_size 24
		.amdhsa_round_robin_scheduling 0
		.amdhsa_exception_fp_ieee_invalid_op 0
		.amdhsa_exception_fp_denorm_src 0
		.amdhsa_exception_fp_ieee_div_zero 0
		.amdhsa_exception_fp_ieee_overflow 0
		.amdhsa_exception_fp_ieee_underflow 0
		.amdhsa_exception_fp_ieee_inexact 0
		.amdhsa_exception_int_div_zero 0
	.end_amdhsa_kernel
	.section	.text._ZN2at6native12_GLOBAL__N_121adaptive_average_poolIN3c104HalfEEEvPKT_PS5_iiiilll,"axG",@progbits,_ZN2at6native12_GLOBAL__N_121adaptive_average_poolIN3c104HalfEEEvPKT_PS5_iiiilll,comdat
.Lfunc_end6:
	.size	_ZN2at6native12_GLOBAL__N_121adaptive_average_poolIN3c104HalfEEEvPKT_PS5_iiiilll, .Lfunc_end6-_ZN2at6native12_GLOBAL__N_121adaptive_average_poolIN3c104HalfEEEvPKT_PS5_iiiilll
                                        ; -- End function
	.set _ZN2at6native12_GLOBAL__N_121adaptive_average_poolIN3c104HalfEEEvPKT_PS5_iiiilll.num_vgpr, 26
	.set _ZN2at6native12_GLOBAL__N_121adaptive_average_poolIN3c104HalfEEEvPKT_PS5_iiiilll.num_agpr, 0
	.set _ZN2at6native12_GLOBAL__N_121adaptive_average_poolIN3c104HalfEEEvPKT_PS5_iiiilll.numbered_sgpr, 52
	.set _ZN2at6native12_GLOBAL__N_121adaptive_average_poolIN3c104HalfEEEvPKT_PS5_iiiilll.num_named_barrier, 0
	.set _ZN2at6native12_GLOBAL__N_121adaptive_average_poolIN3c104HalfEEEvPKT_PS5_iiiilll.private_seg_size, 0
	.set _ZN2at6native12_GLOBAL__N_121adaptive_average_poolIN3c104HalfEEEvPKT_PS5_iiiilll.uses_vcc, 1
	.set _ZN2at6native12_GLOBAL__N_121adaptive_average_poolIN3c104HalfEEEvPKT_PS5_iiiilll.uses_flat_scratch, 0
	.set _ZN2at6native12_GLOBAL__N_121adaptive_average_poolIN3c104HalfEEEvPKT_PS5_iiiilll.has_dyn_sized_stack, 0
	.set _ZN2at6native12_GLOBAL__N_121adaptive_average_poolIN3c104HalfEEEvPKT_PS5_iiiilll.has_recursion, 0
	.set _ZN2at6native12_GLOBAL__N_121adaptive_average_poolIN3c104HalfEEEvPKT_PS5_iiiilll.has_indirect_call, 0
	.section	.AMDGPU.csdata,"",@progbits
; Kernel info:
; codeLenInByte = 3036
; TotalNumSgprs: 54
; NumVgprs: 26
; ScratchSize: 0
; MemoryBound: 0
; FloatMode: 240
; IeeeMode: 1
; LDSByteSize: 0 bytes/workgroup (compile time only)
; SGPRBlocks: 0
; VGPRBlocks: 1
; NumSGPRsForWavesPerEU: 54
; NumVGPRsForWavesPerEU: 26
; NamedBarCnt: 0
; Occupancy: 16
; WaveLimiterHint : 0
; COMPUTE_PGM_RSRC2:SCRATCH_EN: 0
; COMPUTE_PGM_RSRC2:USER_SGPR: 2
; COMPUTE_PGM_RSRC2:TRAP_HANDLER: 0
; COMPUTE_PGM_RSRC2:TGID_X_EN: 1
; COMPUTE_PGM_RSRC2:TGID_Y_EN: 1
; COMPUTE_PGM_RSRC2:TGID_Z_EN: 0
; COMPUTE_PGM_RSRC2:TIDIG_COMP_CNT: 1
	.section	.text._ZN2at6native12_GLOBAL__N_121adaptive_average_poolIN3c108BFloat16EEEvPKT_PS5_iiiilll,"axG",@progbits,_ZN2at6native12_GLOBAL__N_121adaptive_average_poolIN3c108BFloat16EEEvPKT_PS5_iiiilll,comdat
	.globl	_ZN2at6native12_GLOBAL__N_121adaptive_average_poolIN3c108BFloat16EEEvPKT_PS5_iiiilll ; -- Begin function _ZN2at6native12_GLOBAL__N_121adaptive_average_poolIN3c108BFloat16EEEvPKT_PS5_iiiilll
	.p2align	8
	.type	_ZN2at6native12_GLOBAL__N_121adaptive_average_poolIN3c108BFloat16EEEvPKT_PS5_iiiilll,@function
_ZN2at6native12_GLOBAL__N_121adaptive_average_poolIN3c108BFloat16EEEvPKT_PS5_iiiilll: ; @_ZN2at6native12_GLOBAL__N_121adaptive_average_poolIN3c108BFloat16EEEvPKT_PS5_iiiilll
; %bb.0:
	s_clause 0x1
	s_load_b32 s2, s[0:1], 0x44
	s_load_b128 s[4:7], s[0:1], 0x10
	s_bfe_u32 s3, ttmp6, 0x40010
	s_bfe_u32 s8, ttmp6, 0x40004
	s_add_co_i32 s3, s3, 1
	s_getreg_b32 s16, hwreg(HW_REG_IB_STS2, 6, 4)
	s_mul_i32 s3, ttmp7, s3
	v_bfe_u32 v1, v0, 10, 10
	s_add_co_i32 s8, s8, s3
	s_wait_kmcnt 0x0
	s_lshr_b32 s17, s2, 16
	s_cmp_eq_u32 s16, 0
	s_cselect_b32 s3, ttmp7, s8
	s_mov_b32 s8, exec_lo
	v_mad_u32 v10, s3, s17, v1
	s_mov_b32 s3, 0
	s_delay_alu instid0(VALU_DEP_1)
	v_cmpx_gt_i32_e64 s6, v10
	s_cbranch_execz .LBB7_22
; %bb.1:
	s_load_b128 s[8:11], s[0:1], 0x0
	s_bfe_u32 s14, ttmp6, 0x4000c
	s_and_b32 s18, ttmp6, 15
	s_add_co_i32 s14, s14, 1
	s_add_nc_u64 s[12:13], s[0:1], 56
	s_mul_i32 s19, ttmp9, s14
	s_load_b32 s34, s[12:13], 0x4
	s_add_co_i32 s18, s18, s19
	s_cmp_eq_u32 s16, 0
	s_mov_b32 s16, s6
	s_cselect_b32 s22, ttmp9, s18
	v_cvt_f32_u32_e32 v1, s16
	s_wait_xcnt 0x0
	s_clause 0x1
	s_load_b128 s[12:15], s[0:1], 0x20
	s_load_b64 s[24:25], s[0:1], 0x30
	s_wait_xcnt 0x0
	s_mul_i32 s0, s6, s22
	s_abs_i32 s33, s6
	s_mul_i32 s0, s0, s7
	v_rcp_iflag_f32_e32 v1, v1
	s_cvt_f32_u32 s18, s33
	s_ashr_i32 s1, s0, 31
	s_abs_i32 s35, s7
	s_lshl_b64 s[0:1], s[0:1], 1
	v_rcp_iflag_f32_e32 v2, s18
	s_wait_kmcnt 0x0
	s_add_nc_u64 s[10:11], s[10:11], s[0:1]
	s_cvt_f32_u32 s0, s35
	v_mul_f32_e32 v1, 0x4f7ffffe, v1
	v_and_b32_e32 v11, 0x3ff, v0
	s_sub_co_i32 s18, 0, s6
	v_rcp_iflag_f32_e32 v0, s0
	v_readfirstlane_b32 s1, v2
	v_cvt_u32_f32_e32 v2, v1
	s_and_b32 s36, s2, 0xffff
	s_ashr_i32 s23, s22, 31
	v_cmp_gt_i32_e64 s0, s7, v11
	s_mul_f32 s1, s1, 0x4f7ffffe
	v_readfirstlane_b32 s2, v0
	v_mul_lo_u32 v0, s18, v2
	s_sub_co_i32 s18, 0, s33
	s_cvt_u32_f32 s1, s1
	s_mul_u64 s[22:23], s[12:13], s[22:23]
	s_mul_f32 s2, s2, 0x4f7ffffe
	v_mov_b32_e32 v1, 0
	s_mul_i32 s20, s18, s1
	s_mul_i32 s34, s34, s17
	s_mul_hi_u32 s20, s1, s20
	s_cvt_u32_f32 s2, s2
	s_add_co_i32 s20, s1, s20
	v_mul_hi_u32 v0, v2, v0
	s_sub_co_i32 s1, 0, s35
	s_ashr_i32 s17, s6, 31
	s_mul_i32 s1, s1, s2
	s_lshl_b64 s[22:23], s[22:23], 1
	s_mul_hi_u32 s1, s2, s1
	s_ashr_i32 s37, s5, 31
	s_mov_b32 s38, s5
	s_ashr_i32 s19, s7, 31
	s_mov_b32 s18, s7
	s_mov_b32 s21, s3
	v_add_nc_u32_e32 v12, v2, v0
	s_add_co_i32 s12, s2, s1
	s_mov_b32 s13, s3
	s_add_nc_u64 s[8:9], s[8:9], s[22:23]
	s_lshl_b64 s[14:15], s[14:15], 1
	s_mov_b64 s[22:23], 0xffffffff
	s_lshl_b64 s[24:25], s[24:25], 1
	s_ashr_i32 s26, s17, 31
	s_mov_b32 s39, 0
	s_branch .LBB7_3
.LBB7_2:                                ;   in Loop: Header=BB7_3 Depth=1
	s_or_b32 exec_lo, exec_lo, s27
	v_add_nc_u32_e32 v10, s34, v10
	s_delay_alu instid0(VALU_DEP_1) | instskip(SKIP_1) | instid1(SALU_CYCLE_1)
	v_cmp_le_i32_e32 vcc_lo, s6, v10
	s_or_b32 s39, vcc_lo, s39
	s_and_not1_b32 exec_lo, exec_lo, s39
	s_cbranch_execz .LBB7_22
.LBB7_3:                                ; =>This Loop Header: Depth=1
                                        ;     Child Loop BB7_11 Depth 2
                                        ;       Child Loop BB7_18 Depth 3
                                        ;         Child Loop BB7_20 Depth 4
	v_dual_add_nc_u32 v0, 1, v10 :: v_dual_mov_b32 v4, v1
	s_delay_alu instid0(VALU_DEP_1) | instskip(NEXT) | instid1(VALU_DEP_1)
	v_mad_nc_i64_i32 v[2:3], v0, s4, -1
	v_or_b32_e32 v5, s17, v3
	s_delay_alu instid0(VALU_DEP_1) | instskip(SKIP_1) | instid1(SALU_CYCLE_1)
	v_cmp_ne_u64_e32 vcc_lo, 0, v[4:5]
                                        ; implicit-def: $vgpr4_vgpr5
	s_and_saveexec_b32 s1, vcc_lo
	s_xor_b32 s30, exec_lo, s1
	s_cbranch_execnz .LBB7_6
; %bb.4:                                ;   in Loop: Header=BB7_3 Depth=1
	s_and_not1_saveexec_b32 s1, s30
	s_cbranch_execnz .LBB7_7
.LBB7_5:                                ;   in Loop: Header=BB7_3 Depth=1
	s_or_b32 exec_lo, exec_lo, s1
	s_and_saveexec_b32 s27, s0
	s_cbranch_execz .LBB7_2
	s_branch .LBB7_8
.LBB7_6:                                ;   in Loop: Header=BB7_3 Depth=1
	s_mov_b32 s27, s26
	v_dual_mov_b32 v9, v1 :: v_dual_ashrrev_i32 v4, 31, v3
	s_add_nc_u64 s[28:29], s[16:17], s[26:27]
	v_mov_b32_e32 v17, v1
	s_xor_b64 s[28:29], s[28:29], s[26:27]
	s_delay_alu instid0(VALU_DEP_2) | instskip(SKIP_3) | instid1(VALU_DEP_1)
	v_mov_b32_e32 v5, v4
	s_cvt_f32_u32 s1, s28
	s_cvt_f32_u32 s2, s29
	s_sub_nc_u64 s[42:43], 0, s[28:29]
	v_add_nc_u64_e32 v[2:3], v[2:3], v[4:5]
	s_delay_alu instid0(SALU_CYCLE_1) | instskip(NEXT) | instid1(SALU_CYCLE_3)
	s_fmamk_f32 s1, s2, 0x4f800000, s1
	v_s_rcp_f32 s1, s1
	s_delay_alu instid0(VALU_DEP_1) | instskip(NEXT) | instid1(VALU_DEP_2)
	v_xor_b32_e32 v0, v2, v4
	v_xor_b32_e32 v8, v3, v4
	;; [unrolled: 1-line block ×3, first 2 shown]
	s_delay_alu instid0(TRANS32_DEP_1) | instskip(NEXT) | instid1(SALU_CYCLE_3)
	s_mul_f32 s1, s1, 0x5f7ffffc
	s_mul_f32 s2, s1, 0x2f800000
	s_delay_alu instid0(SALU_CYCLE_3) | instskip(NEXT) | instid1(SALU_CYCLE_3)
	s_trunc_f32 s2, s2
	s_fmamk_f32 s1, s2, 0xcf800000, s1
	s_cvt_u32_f32 s41, s2
	s_delay_alu instid0(SALU_CYCLE_2) | instskip(NEXT) | instid1(SALU_CYCLE_3)
	s_cvt_u32_f32 s40, s1
	s_mul_u64 s[44:45], s[42:43], s[40:41]
	s_delay_alu instid0(SALU_CYCLE_1)
	s_mul_hi_u32 s47, s40, s45
	s_mul_i32 s46, s40, s45
	s_mul_hi_u32 s2, s40, s44
	s_mul_i32 s27, s41, s44
	s_add_nc_u64 s[46:47], s[2:3], s[46:47]
	s_mul_hi_u32 s1, s41, s44
	s_mul_hi_u32 s31, s41, s45
	s_add_co_u32 s2, s46, s27
	s_add_co_ci_u32 s2, s47, s1
	s_mul_i32 s44, s41, s45
	s_add_co_ci_u32 s45, s31, 0
	s_delay_alu instid0(SALU_CYCLE_1) | instskip(NEXT) | instid1(SALU_CYCLE_1)
	s_add_nc_u64 s[44:45], s[2:3], s[44:45]
	s_add_co_u32 s40, s40, s44
	s_cselect_b32 s1, -1, 0
	s_delay_alu instid0(SALU_CYCLE_1) | instskip(SKIP_1) | instid1(SALU_CYCLE_1)
	s_cmp_lg_u32 s1, 0
	s_add_co_ci_u32 s41, s41, s45
	s_mul_u64 s[42:43], s[42:43], s[40:41]
	s_delay_alu instid0(SALU_CYCLE_1)
	s_mul_hi_u32 s45, s40, s43
	s_mul_i32 s44, s40, s43
	s_mul_hi_u32 s2, s40, s42
	s_mul_i32 s27, s41, s42
	s_add_nc_u64 s[44:45], s[2:3], s[44:45]
	s_mul_hi_u32 s1, s41, s42
	s_mul_hi_u32 s31, s41, s43
	s_add_co_u32 s2, s44, s27
	s_add_co_ci_u32 s2, s45, s1
	s_mul_i32 s42, s41, s43
	s_add_co_ci_u32 s43, s31, 0
	s_delay_alu instid0(SALU_CYCLE_1) | instskip(NEXT) | instid1(SALU_CYCLE_1)
	s_add_nc_u64 s[42:43], s[2:3], s[42:43]
	s_add_co_u32 s40, s40, s42
	s_cselect_b32 s1, -1, 0
	v_mul_hi_u32 v16, v0, s40
	s_cmp_lg_u32 s1, 0
	s_add_co_ci_u32 s2, s41, s43
	s_and_b64 s[42:43], s[40:41], s[22:23]
	v_mul_u64_e32 v[6:7], s[2:3], v[0:1]
	v_mul_u64_e32 v[2:3], s[42:43], v[8:9]
	;; [unrolled: 1-line block ×3, first 2 shown]
	s_delay_alu instid0(VALU_DEP_3) | instskip(NEXT) | instid1(VALU_DEP_1)
	v_add_nc_u64_e32 v[6:7], v[16:17], v[6:7]
	v_add_co_u32 v2, vcc_lo, v6, v2
	s_delay_alu instid0(VALU_DEP_2) | instskip(NEXT) | instid1(VALU_DEP_4)
	v_add_co_ci_u32_e32 v16, vcc_lo, v7, v3, vcc_lo
	v_add_co_ci_u32_e32 v15, vcc_lo, 0, v15, vcc_lo
	s_delay_alu instid0(VALU_DEP_1) | instskip(NEXT) | instid1(VALU_DEP_1)
	v_add_nc_u64_e32 v[2:3], v[16:17], v[14:15]
	v_mul_u64_e32 v[6:7], s[28:29], v[2:3]
	s_delay_alu instid0(VALU_DEP_1) | instskip(NEXT) | instid1(VALU_DEP_2)
	v_sub_nc_u32_e32 v5, v8, v7
	v_sub_co_u32 v0, vcc_lo, v0, v6
	s_delay_alu instid0(VALU_DEP_1) | instskip(NEXT) | instid1(VALU_DEP_3)
	v_sub_co_ci_u32_e64 v13, null, v8, v7, vcc_lo
	v_subrev_co_ci_u32_e64 v5, null, s29, v5, vcc_lo
	s_delay_alu instid0(VALU_DEP_3) | instskip(SKIP_1) | instid1(VALU_DEP_3)
	v_sub_co_u32 v6, s1, v0, s28
	v_add_nc_u64_e32 v[8:9], 1, v[2:3]
	v_subrev_co_ci_u32_e64 v5, null, 0, v5, s1
	s_delay_alu instid0(VALU_DEP_3) | instskip(SKIP_1) | instid1(VALU_DEP_3)
	v_cmp_le_u32_e32 vcc_lo, s28, v6
	v_cndmask_b32_e64 v6, 0, -1, vcc_lo
	v_cmp_le_u32_e32 vcc_lo, s29, v5
	v_cndmask_b32_e64 v7, 0, -1, vcc_lo
	;; [unrolled: 2-line block ×4, first 2 shown]
	v_cmp_eq_u32_e32 vcc_lo, s29, v5
	v_cndmask_b32_e32 v5, v7, v6, vcc_lo
	v_cmp_eq_u32_e32 vcc_lo, s29, v13
	v_add_nc_u64_e32 v[6:7], 2, v[2:3]
	v_cndmask_b32_e32 v0, v14, v0, vcc_lo
	s_delay_alu instid0(VALU_DEP_4) | instskip(NEXT) | instid1(VALU_DEP_2)
	v_cmp_ne_u32_e32 vcc_lo, 0, v5
	v_cmp_ne_u32_e64 s1, 0, v0
	s_delay_alu instid0(VALU_DEP_4) | instskip(NEXT) | instid1(VALU_DEP_1)
	v_dual_cndmask_b32 v5, v9, v7 :: v_dual_cndmask_b32 v0, v8, v6
	v_dual_cndmask_b32 v3, v3, v5, s1 :: v_dual_cndmask_b32 v0, v2, v0, s1
	s_delay_alu instid0(VALU_DEP_1) | instskip(NEXT) | instid1(VALU_DEP_2)
	v_dual_mov_b32 v5, v4 :: v_dual_bitop2_b32 v3, v3, v4 bitop3:0x14
	v_xor_b32_e32 v2, v0, v4
	s_delay_alu instid0(VALU_DEP_1)
	v_sub_nc_u64_e32 v[4:5], v[2:3], v[4:5]
                                        ; implicit-def: $vgpr2_vgpr3
	s_and_not1_saveexec_b32 s1, s30
	s_cbranch_execz .LBB7_5
.LBB7_7:                                ;   in Loop: Header=BB7_3 Depth=1
	s_delay_alu instid0(VALU_DEP_3) | instskip(NEXT) | instid1(VALU_DEP_1)
	v_mul_hi_u32 v0, v2, v12
	v_mul_lo_u32 v3, v0, s16
	s_delay_alu instid0(VALU_DEP_1) | instskip(NEXT) | instid1(VALU_DEP_1)
	v_dual_sub_nc_u32 v2, v2, v3 :: v_dual_add_nc_u32 v3, 1, v0
	v_subrev_nc_u32_e32 v4, s16, v2
	v_cmp_le_u32_e32 vcc_lo, s16, v2
	s_delay_alu instid0(VALU_DEP_2) | instskip(NEXT) | instid1(VALU_DEP_1)
	v_dual_cndmask_b32 v2, v2, v4, vcc_lo :: v_dual_cndmask_b32 v0, v0, v3, vcc_lo
	v_cmp_le_u32_e32 vcc_lo, s16, v2
	s_delay_alu instid0(VALU_DEP_2) | instskip(NEXT) | instid1(VALU_DEP_1)
	v_add_nc_u32_e32 v3, 1, v0
	v_cndmask_b32_e32 v4, v0, v3, vcc_lo
	s_or_b32 exec_lo, exec_lo, s1
	s_and_saveexec_b32 s27, s0
	s_cbranch_execz .LBB7_2
.LBB7_8:                                ;   in Loop: Header=BB7_3 Depth=1
	v_sub_nc_u32_e32 v0, 0, v10
	s_mov_b32 s40, 0
	s_delay_alu instid0(VALU_DEP_1) | instskip(NEXT) | instid1(VALU_DEP_1)
	v_max_i32_e32 v0, v10, v0
	v_mul_u64_e32 v[2:3], s[20:21], v[0:1]
	s_delay_alu instid0(VALU_DEP_1) | instskip(NEXT) | instid1(VALU_DEP_1)
	v_mul_lo_u32 v2, v3, s33
	v_dual_sub_nc_u32 v0, v0, v2 :: v_dual_add_nc_u32 v2, 1, v3
	s_delay_alu instid0(VALU_DEP_1) | instskip(SKIP_1) | instid1(VALU_DEP_3)
	v_subrev_nc_u32_e32 v5, s33, v0
	v_cmp_le_u32_e32 vcc_lo, s33, v0
	v_cndmask_b32_e32 v2, v3, v2, vcc_lo
	s_delay_alu instid0(VALU_DEP_3) | instskip(NEXT) | instid1(VALU_DEP_2)
	v_dual_cndmask_b32 v0, v0, v5 :: v_dual_ashrrev_i32 v3, 31, v10
	v_add_nc_u32_e32 v5, 1, v2
	s_delay_alu instid0(VALU_DEP_2) | instskip(NEXT) | instid1(VALU_DEP_2)
	v_cmp_le_u32_e32 vcc_lo, s33, v0
	v_dual_cndmask_b32 v0, v2, v5, vcc_lo :: v_dual_bitop2_b32 v3, s17, v3 bitop3:0x14
	s_delay_alu instid0(VALU_DEP_1) | instskip(NEXT) | instid1(VALU_DEP_1)
	v_xor_b32_e32 v0, v0, v3
	v_sub_nc_u32_e32 v5, v0, v3
	s_delay_alu instid0(VALU_DEP_1) | instskip(NEXT) | instid1(VALU_DEP_1)
	v_mul_lo_u32 v0, v5, s6
	v_sub_nc_u32_e32 v0, v10, v0
	s_delay_alu instid0(VALU_DEP_1) | instskip(NEXT) | instid1(VALU_DEP_1)
	v_mul_lo_u32 v6, v0, s4
	v_sub_nc_u32_e32 v0, 0, v6
	s_delay_alu instid0(VALU_DEP_1) | instskip(NEXT) | instid1(VALU_DEP_1)
	v_max_i32_e32 v0, v6, v0
	v_mul_u64_e32 v[2:3], s[20:21], v[0:1]
	s_delay_alu instid0(VALU_DEP_1) | instskip(NEXT) | instid1(VALU_DEP_1)
	v_mul_lo_u32 v2, v3, s33
	v_dual_sub_nc_u32 v0, v0, v2 :: v_dual_add_nc_u32 v2, 1, v3
	s_delay_alu instid0(VALU_DEP_1) | instskip(NEXT) | instid1(VALU_DEP_2)
	v_cmp_le_u32_e32 vcc_lo, s33, v0
	v_cndmask_b32_e32 v2, v3, v2, vcc_lo
	v_ashrrev_i32_e32 v3, 31, v6
	s_delay_alu instid0(VALU_DEP_2) | instskip(SKIP_1) | instid1(VALU_DEP_1)
	v_add_nc_u32_e32 v6, 1, v2
	v_subrev_nc_u32_e32 v7, s33, v0
	v_cndmask_b32_e32 v0, v0, v7, vcc_lo
	s_delay_alu instid0(VALU_DEP_1) | instskip(NEXT) | instid1(VALU_DEP_4)
	v_cmp_le_u32_e32 vcc_lo, s33, v0
	v_dual_cndmask_b32 v0, v2, v6, vcc_lo :: v_dual_bitop2_b32 v3, s17, v3 bitop3:0x14
	v_mul_lo_u32 v6, v10, s7
	s_delay_alu instid0(VALU_DEP_2) | instskip(NEXT) | instid1(VALU_DEP_1)
	v_xor_b32_e32 v0, v0, v3
	v_dual_sub_nc_u32 v0, v0, v3 :: v_dual_ashrrev_i32 v7, 31, v6
	s_delay_alu instid0(VALU_DEP_1) | instskip(NEXT) | instid1(VALU_DEP_1)
	v_mad_u32 v0, v5, s4, v0
	v_mad_nc_u64_u32 v[2:3], s14, v0, s[8:9]
	v_sub_nc_u32_e32 v13, v4, v0
	s_delay_alu instid0(VALU_DEP_4) | instskip(NEXT) | instid1(VALU_DEP_3)
	v_lshl_add_u64 v[4:5], v[6:7], 1, s[10:11]
	v_mad_u32 v3, s15, v0, v3
	s_delay_alu instid0(VALU_DEP_3) | instskip(SKIP_1) | instid1(VALU_DEP_2)
	v_dual_ashrrev_i32 v0, 31, v0 :: v_dual_add_nc_u32 v8, 1, v13
	v_cmp_gt_u32_e64 s1, 0x7fffffff, v13
	v_cvt_f32_i32_e32 v14, v8
	s_delay_alu instid0(VALU_DEP_3)
	v_mad_u32 v3, s14, v0, v3
	v_mov_b32_e32 v0, v11
	s_branch .LBB7_11
.LBB7_9:                                ;   in Loop: Header=BB7_11 Depth=2
	s_or_b32 exec_lo, exec_lo, s29
.LBB7_10:                               ;   in Loop: Header=BB7_11 Depth=2
	s_delay_alu instid0(SALU_CYCLE_1) | instskip(SKIP_2) | instid1(VALU_DEP_2)
	s_or_b32 exec_lo, exec_lo, s28
	v_div_scale_f32 v6, null, v14, v14, v16
	v_div_scale_f32 v9, vcc_lo, v16, v14, v16
	v_rcp_f32_e32 v7, v6
	v_nop
	s_delay_alu instid0(TRANS32_DEP_1) | instskip(NEXT) | instid1(VALU_DEP_1)
	v_fma_f32 v8, -v6, v7, 1.0
	v_fmac_f32_e32 v7, v8, v7
	s_delay_alu instid0(VALU_DEP_1) | instskip(NEXT) | instid1(VALU_DEP_1)
	v_mul_f32_e32 v8, v9, v7
	v_fma_f32 v17, -v6, v8, v9
	s_delay_alu instid0(VALU_DEP_1) | instskip(NEXT) | instid1(VALU_DEP_1)
	v_fmac_f32_e32 v8, v17, v7
	v_dual_fma_f32 v6, -v6, v8, v9 :: v_dual_add_nc_u32 v9, 1, v15
	s_delay_alu instid0(VALU_DEP_1) | instskip(NEXT) | instid1(VALU_DEP_2)
	v_div_fmas_f32 v6, v6, v7, v8
	v_cvt_f32_i32_e32 v7, v9
	s_delay_alu instid0(VALU_DEP_2) | instskip(NEXT) | instid1(VALU_DEP_1)
	v_div_fixup_f32 v6, v6, v14, v16
	v_div_scale_f32 v8, null, v7, v7, v6
	s_delay_alu instid0(VALU_DEP_1) | instskip(SKIP_1) | instid1(TRANS32_DEP_1)
	v_rcp_f32_e32 v9, v8
	v_nop
	v_fma_f32 v15, -v8, v9, 1.0
	s_delay_alu instid0(VALU_DEP_1) | instskip(SKIP_1) | instid1(VALU_DEP_1)
	v_fmac_f32_e32 v9, v15, v9
	v_div_scale_f32 v15, vcc_lo, v6, v7, v6
	v_mul_f32_e32 v16, v15, v9
	s_delay_alu instid0(VALU_DEP_1) | instskip(NEXT) | instid1(VALU_DEP_1)
	v_fma_f32 v17, -v8, v16, v15
	v_fmac_f32_e32 v16, v17, v9
	s_delay_alu instid0(VALU_DEP_1) | instskip(NEXT) | instid1(VALU_DEP_1)
	v_fma_f32 v8, -v8, v16, v15
	v_div_fmas_f32 v8, v8, v9, v16
	s_delay_alu instid0(VALU_DEP_1) | instskip(NEXT) | instid1(VALU_DEP_1)
	v_div_fixup_f32 v8, v8, v7, v6
	v_bfe_u32 v6, v8, 16, 1
	v_cmp_o_f32_e64 s2, v8, v8
	s_delay_alu instid0(VALU_DEP_2) | instskip(SKIP_1) | instid1(VALU_DEP_2)
	v_add3_u32 v9, v8, v6, 0x7fff
	v_lshl_add_u64 v[6:7], v[0:1], 1, v[4:5]
	v_dual_add_nc_u32 v0, s36, v0 :: v_dual_lshrrev_b32 v9, 16, v9
	s_delay_alu instid0(VALU_DEP_1) | instskip(NEXT) | instid1(VALU_DEP_2)
	v_cmp_le_i32_e32 vcc_lo, s7, v0
	v_cndmask_b32_e64 v8, 0x7fc0, v9, s2
	s_or_b32 s40, vcc_lo, s40
	global_store_b16 v[6:7], v8, off
	s_wait_xcnt 0x0
	s_and_not1_b32 exec_lo, exec_lo, s40
	s_cbranch_execz .LBB7_2
.LBB7_11:                               ;   Parent Loop BB7_3 Depth=1
                                        ; =>  This Loop Header: Depth=2
                                        ;       Child Loop BB7_18 Depth 3
                                        ;         Child Loop BB7_20 Depth 4
	s_delay_alu instid0(VALU_DEP_1) | instskip(NEXT) | instid1(VALU_DEP_1)
	v_add_nc_u32_e32 v8, 1, v0
	v_mad_nc_u64_u32 v[6:7], v8, s38, -1
	s_delay_alu instid0(VALU_DEP_1) | instskip(NEXT) | instid1(VALU_DEP_1)
	v_mad_u32 v7, v8, s37, v7
	v_dual_mov_b32 v8, v1 :: v_dual_bitop2_b32 v9, s19, v7 bitop3:0x54
	s_delay_alu instid0(VALU_DEP_1) | instskip(SKIP_1) | instid1(SALU_CYCLE_1)
	v_cmp_ne_u64_e32 vcc_lo, 0, v[8:9]
                                        ; implicit-def: $vgpr8_vgpr9
	s_and_saveexec_b32 s2, vcc_lo
	s_xor_b32 s41, exec_lo, s2
	s_cbranch_execz .LBB7_13
; %bb.12:                               ;   in Loop: Header=BB7_11 Depth=2
	s_ashr_i32 s28, s19, 31
	v_dual_mov_b32 v17, v1 :: v_dual_ashrrev_i32 v8, 31, v7
	s_mov_b32 s29, s28
	s_delay_alu instid0(SALU_CYCLE_1) | instskip(NEXT) | instid1(VALU_DEP_1)
	s_add_nc_u64 s[30:31], s[18:19], s[28:29]
	v_mov_b32_e32 v9, v8
	s_xor_b64 s[30:31], s[30:31], s[28:29]
	s_delay_alu instid0(SALU_CYCLE_1)
	s_cvt_f32_u32 s2, s30
	s_cvt_f32_u32 s29, s31
	s_sub_nc_u64 s[44:45], 0, s[30:31]
	v_add_nc_u64_e32 v[6:7], v[6:7], v[8:9]
	v_mov_b32_e32 v21, v1
	s_fmamk_f32 s2, s29, 0x4f800000, s2
	s_delay_alu instid0(SALU_CYCLE_3) | instskip(NEXT) | instid1(VALU_DEP_2)
	v_s_rcp_f32 s2, s2
	v_xor_b32_e32 v16, v6, v8
	s_delay_alu instid0(VALU_DEP_3) | instskip(NEXT) | instid1(TRANS32_DEP_1)
	v_dual_mov_b32 v25, v1 :: v_dual_bitop2_b32 v20, v7, v8 bitop3:0x14
	s_mul_f32 s2, s2, 0x5f7ffffc
	s_delay_alu instid0(SALU_CYCLE_3) | instskip(NEXT) | instid1(SALU_CYCLE_3)
	s_mul_f32 s29, s2, 0x2f800000
	s_trunc_f32 s29, s29
	s_delay_alu instid0(SALU_CYCLE_3) | instskip(SKIP_1) | instid1(SALU_CYCLE_2)
	s_fmamk_f32 s2, s29, 0xcf800000, s2
	s_cvt_u32_f32 s43, s29
	s_cvt_u32_f32 s42, s2
	s_delay_alu instid0(SALU_CYCLE_3) | instskip(NEXT) | instid1(SALU_CYCLE_1)
	s_mul_u64 s[46:47], s[44:45], s[42:43]
	s_mul_hi_u32 s49, s42, s47
	s_mul_i32 s48, s42, s47
	s_mul_hi_u32 s2, s42, s46
	s_mul_i32 s50, s43, s46
	s_add_nc_u64 s[48:49], s[2:3], s[48:49]
	s_mul_hi_u32 s29, s43, s46
	s_mul_hi_u32 s51, s43, s47
	s_add_co_u32 s2, s48, s50
	s_add_co_ci_u32 s2, s49, s29
	s_mul_i32 s46, s43, s47
	s_add_co_ci_u32 s47, s51, 0
	s_delay_alu instid0(SALU_CYCLE_1) | instskip(NEXT) | instid1(SALU_CYCLE_1)
	s_add_nc_u64 s[46:47], s[2:3], s[46:47]
	s_add_co_u32 s42, s42, s46
	s_cselect_b32 s2, -1, 0
	s_delay_alu instid0(SALU_CYCLE_1) | instskip(SKIP_1) | instid1(SALU_CYCLE_1)
	s_cmp_lg_u32 s2, 0
	s_add_co_ci_u32 s43, s43, s47
	s_mul_u64 s[44:45], s[44:45], s[42:43]
	s_delay_alu instid0(SALU_CYCLE_1)
	s_mul_hi_u32 s47, s42, s45
	s_mul_i32 s46, s42, s45
	s_mul_hi_u32 s2, s42, s44
	s_mul_i32 s48, s43, s44
	s_add_nc_u64 s[46:47], s[2:3], s[46:47]
	s_mul_hi_u32 s29, s43, s44
	s_mul_hi_u32 s49, s43, s45
	s_add_co_u32 s2, s46, s48
	s_add_co_ci_u32 s2, s47, s29
	s_mul_i32 s44, s43, s45
	s_add_co_ci_u32 s45, s49, 0
	s_delay_alu instid0(SALU_CYCLE_1) | instskip(NEXT) | instid1(SALU_CYCLE_1)
	s_add_nc_u64 s[44:45], s[2:3], s[44:45]
	s_add_co_u32 s42, s42, s44
	s_cselect_b32 s2, -1, 0
	v_mul_hi_u32 v24, v16, s42
	s_cmp_lg_u32 s2, 0
	s_add_co_ci_u32 s2, s43, s45
	s_and_b64 s[44:45], s[42:43], s[22:23]
	v_mul_u64_e32 v[18:19], s[2:3], v[16:17]
	v_mul_u64_e32 v[6:7], s[44:45], v[20:21]
	;; [unrolled: 1-line block ×3, first 2 shown]
	s_delay_alu instid0(VALU_DEP_3) | instskip(NEXT) | instid1(VALU_DEP_1)
	v_add_nc_u64_e32 v[18:19], v[24:25], v[18:19]
	v_add_co_u32 v6, vcc_lo, v18, v6
	s_delay_alu instid0(VALU_DEP_2) | instskip(NEXT) | instid1(VALU_DEP_4)
	v_add_co_ci_u32_e32 v24, vcc_lo, v19, v7, vcc_lo
	v_add_co_ci_u32_e32 v23, vcc_lo, 0, v23, vcc_lo
	s_delay_alu instid0(VALU_DEP_1) | instskip(NEXT) | instid1(VALU_DEP_1)
	v_add_nc_u64_e32 v[6:7], v[24:25], v[22:23]
	v_mul_u64_e32 v[18:19], s[30:31], v[6:7]
	s_delay_alu instid0(VALU_DEP_1) | instskip(NEXT) | instid1(VALU_DEP_2)
	v_sub_nc_u32_e32 v9, v20, v19
	v_sub_co_u32 v15, vcc_lo, v16, v18
	s_delay_alu instid0(VALU_DEP_1) | instskip(NEXT) | instid1(VALU_DEP_3)
	v_sub_co_ci_u32_e64 v20, null, v20, v19, vcc_lo
	v_subrev_co_ci_u32_e64 v9, null, s31, v9, vcc_lo
	s_delay_alu instid0(VALU_DEP_3) | instskip(SKIP_1) | instid1(VALU_DEP_3)
	v_sub_co_u32 v16, s2, v15, s30
	v_add_nc_u64_e32 v[18:19], 1, v[6:7]
	v_subrev_co_ci_u32_e64 v9, null, 0, v9, s2
	s_delay_alu instid0(VALU_DEP_3) | instskip(SKIP_1) | instid1(VALU_DEP_3)
	v_cmp_le_u32_e32 vcc_lo, s30, v16
	v_cndmask_b32_e64 v16, 0, -1, vcc_lo
	v_cmp_le_u32_e32 vcc_lo, s31, v9
	v_cndmask_b32_e64 v17, 0, -1, vcc_lo
	v_cmp_le_u32_e32 vcc_lo, s30, v15
	v_cndmask_b32_e64 v15, 0, -1, vcc_lo
	v_cmp_le_u32_e32 vcc_lo, s31, v20
	v_cndmask_b32_e64 v21, 0, -1, vcc_lo
	v_cmp_eq_u32_e32 vcc_lo, s31, v9
	v_cndmask_b32_e32 v9, v17, v16, vcc_lo
	v_cmp_eq_u32_e32 vcc_lo, s31, v20
	v_add_nc_u64_e32 v[16:17], 2, v[6:7]
	v_cndmask_b32_e32 v15, v21, v15, vcc_lo
	s_delay_alu instid0(VALU_DEP_4) | instskip(NEXT) | instid1(VALU_DEP_3)
	v_cmp_ne_u32_e32 vcc_lo, 0, v9
	v_cndmask_b32_e32 v9, v19, v17, vcc_lo
	s_delay_alu instid0(VALU_DEP_3) | instskip(SKIP_1) | instid1(VALU_DEP_2)
	v_cmp_ne_u32_e64 s2, 0, v15
	v_cndmask_b32_e32 v15, v18, v16, vcc_lo
	v_dual_cndmask_b32 v7, v7, v9, s2 :: v_dual_bitop2_b32 v8, s28, v8 bitop3:0x14
	s_delay_alu instid0(VALU_DEP_1) | instskip(NEXT) | instid1(VALU_DEP_2)
	v_dual_cndmask_b32 v6, v6, v15, s2 :: v_dual_mov_b32 v9, v8
	v_xor_b32_e32 v7, v7, v8
	s_delay_alu instid0(VALU_DEP_2) | instskip(NEXT) | instid1(VALU_DEP_1)
	v_xor_b32_e32 v6, v6, v8
	v_sub_nc_u64_e32 v[8:9], v[6:7], v[8:9]
                                        ; implicit-def: $vgpr6_vgpr7
.LBB7_13:                               ;   in Loop: Header=BB7_11 Depth=2
	s_and_not1_saveexec_b32 s2, s41
	s_cbranch_execz .LBB7_15
; %bb.14:                               ;   in Loop: Header=BB7_11 Depth=2
	v_cvt_f32_u32_e32 v7, s18
	s_sub_co_i32 s28, 0, s18
	s_delay_alu instid0(VALU_DEP_1) | instskip(SKIP_1) | instid1(TRANS32_DEP_1)
	v_rcp_iflag_f32_e32 v7, v7
	v_nop
	v_mul_f32_e32 v7, 0x4f7ffffe, v7
	s_delay_alu instid0(VALU_DEP_1) | instskip(NEXT) | instid1(VALU_DEP_1)
	v_cvt_u32_f32_e32 v7, v7
	v_mul_lo_u32 v8, s28, v7
	s_delay_alu instid0(VALU_DEP_1) | instskip(NEXT) | instid1(VALU_DEP_1)
	v_mul_hi_u32 v8, v7, v8
	v_add_nc_u32_e32 v7, v7, v8
	s_delay_alu instid0(VALU_DEP_1) | instskip(NEXT) | instid1(VALU_DEP_1)
	v_mul_hi_u32 v7, v6, v7
	v_mul_lo_u32 v8, v7, s18
	s_delay_alu instid0(VALU_DEP_1) | instskip(NEXT) | instid1(VALU_DEP_1)
	v_dual_sub_nc_u32 v6, v6, v8 :: v_dual_add_nc_u32 v8, 1, v7
	v_subrev_nc_u32_e32 v9, s18, v6
	v_cmp_le_u32_e32 vcc_lo, s18, v6
	s_delay_alu instid0(VALU_DEP_2) | instskip(NEXT) | instid1(VALU_DEP_1)
	v_dual_cndmask_b32 v6, v6, v9 :: v_dual_cndmask_b32 v7, v7, v8
	v_cmp_le_u32_e32 vcc_lo, s18, v6
	s_delay_alu instid0(VALU_DEP_2) | instskip(NEXT) | instid1(VALU_DEP_1)
	v_add_nc_u32_e32 v8, 1, v7
	v_cndmask_b32_e32 v8, v7, v8, vcc_lo
.LBB7_15:                               ;   in Loop: Header=BB7_11 Depth=2
	s_or_b32 exec_lo, exec_lo, s2
	v_mul_u64_e32 v[6:7], s[12:13], v[0:1]
	v_mul_lo_u32 v9, v0, s5
	s_delay_alu instid0(VALU_DEP_1) | instskip(NEXT) | instid1(VALU_DEP_1)
	v_dual_mov_b32 v17, v1 :: v_dual_sub_nc_u32 v6, 0, v9
	v_dual_ashrrev_i32 v9, 31, v9 :: v_dual_max_i32 v16, v9, v6
	s_delay_alu instid0(VALU_DEP_4) | instskip(NEXT) | instid1(VALU_DEP_1)
	v_mul_lo_u32 v6, v7, s35
	v_sub_nc_u32_e32 v6, v0, v6
	s_delay_alu instid0(VALU_DEP_3) | instskip(NEXT) | instid1(VALU_DEP_2)
	v_mul_u64_e32 v[18:19], s[12:13], v[16:17]
	v_subrev_nc_u32_e32 v18, s35, v6
	v_cmp_le_u32_e32 vcc_lo, s35, v6
	s_delay_alu instid0(VALU_DEP_2) | instskip(NEXT) | instid1(VALU_DEP_4)
	v_dual_cndmask_b32 v6, v6, v18 :: v_dual_add_nc_u32 v15, 1, v7
	v_mul_lo_u32 v17, v19, s35
	s_delay_alu instid0(VALU_DEP_2) | instskip(NEXT) | instid1(VALU_DEP_3)
	v_cndmask_b32_e32 v7, v7, v15, vcc_lo
	v_cmp_le_u32_e32 vcc_lo, s35, v6
	s_delay_alu instid0(VALU_DEP_2) | instskip(NEXT) | instid1(VALU_DEP_1)
	v_dual_sub_nc_u32 v16, v16, v17 :: v_dual_add_nc_u32 v15, 1, v7
	v_cndmask_b32_e32 v6, v7, v15, vcc_lo
	v_add_nc_u32_e32 v17, 1, v19
	s_delay_alu instid0(VALU_DEP_3) | instskip(SKIP_1) | instid1(VALU_DEP_3)
	v_subrev_nc_u32_e32 v7, s35, v16
	v_cmp_le_u32_e32 vcc_lo, s35, v16
	v_dual_cndmask_b32 v15, v19, v17, vcc_lo :: v_dual_bitop2_b32 v6, s19, v6 bitop3:0x14
	s_delay_alu instid0(VALU_DEP_3) | instskip(NEXT) | instid1(VALU_DEP_2)
	v_cndmask_b32_e32 v7, v16, v7, vcc_lo
	v_subrev_nc_u32_e32 v6, s19, v6
	s_delay_alu instid0(VALU_DEP_3) | instskip(NEXT) | instid1(VALU_DEP_3)
	v_add_nc_u32_e32 v16, 1, v15
	v_cmp_le_u32_e32 vcc_lo, s35, v7
	v_xor_b32_e32 v9, s19, v9
	s_delay_alu instid0(VALU_DEP_4) | instskip(NEXT) | instid1(VALU_DEP_4)
	v_mul_lo_u32 v18, v6, s5
	v_dual_cndmask_b32 v7, v15, v16 :: v_dual_mov_b32 v16, 0
	s_delay_alu instid0(VALU_DEP_1) | instskip(NEXT) | instid1(VALU_DEP_1)
	v_xor_b32_e32 v17, v7, v9
	v_sub_nc_u32_e32 v6, v17, v9
	s_delay_alu instid0(VALU_DEP_1) | instskip(NEXT) | instid1(VALU_DEP_1)
	v_add_nc_u32_e32 v19, v6, v18
	v_sub_nc_u32_e32 v15, v8, v19
	s_and_saveexec_b32 s28, s1
	s_cbranch_execz .LBB7_10
; %bb.16:                               ;   in Loop: Header=BB7_11 Depth=2
	v_mad_nc_u64_u32 v[6:7], s24, v19, v[2:3]
	v_dual_add_nc_u32 v8, v9, v8 :: v_dual_ashrrev_i32 v9, 31, v19
	s_mov_b32 s29, 0
	s_mov_b32 s30, 0
	s_delay_alu instid0(VALU_DEP_1) | instskip(SKIP_1) | instid1(VALU_DEP_2)
	v_dual_mov_b32 v16, 0 :: v_dual_sub_nc_u32 v8, v8, v18
	v_cmp_gt_u32_e32 vcc_lo, 0x7fffffff, v15
	v_sub_nc_u32_e32 v8, v8, v17
	v_mad_u32 v7, s25, v19, v7
	s_delay_alu instid0(VALU_DEP_2) | instskip(NEXT) | instid1(VALU_DEP_2)
	v_add_nc_u32_e32 v17, 1, v8
	v_mad_u32 v7, s24, v9, v7
	s_branch .LBB7_18
.LBB7_17:                               ;   in Loop: Header=BB7_18 Depth=3
	s_or_b32 exec_lo, exec_lo, s31
	v_cmp_eq_u32_e64 s2, s30, v13
	s_delay_alu instid0(VALU_DEP_2) | instskip(SKIP_2) | instid1(SALU_CYCLE_1)
	v_add_nc_u64_e32 v[6:7], s[14:15], v[6:7]
	s_add_co_i32 s30, s30, 1
	s_or_b32 s29, s2, s29
	s_and_not1_b32 exec_lo, exec_lo, s29
	s_cbranch_execz .LBB7_9
.LBB7_18:                               ;   Parent Loop BB7_3 Depth=1
                                        ;     Parent Loop BB7_11 Depth=2
                                        ; =>    This Loop Header: Depth=3
                                        ;         Child Loop BB7_20 Depth 4
	s_and_saveexec_b32 s31, vcc_lo
	s_cbranch_execz .LBB7_17
; %bb.19:                               ;   in Loop: Header=BB7_18 Depth=3
	s_delay_alu instid0(VALU_DEP_1)
	v_mov_b64_e32 v[8:9], v[6:7]
	v_mov_b32_e32 v18, v17
	s_mov_b32 s41, 0
.LBB7_20:                               ;   Parent Loop BB7_3 Depth=1
                                        ;     Parent Loop BB7_11 Depth=2
                                        ;       Parent Loop BB7_18 Depth=3
                                        ; =>      This Inner Loop Header: Depth=4
	global_load_u16 v19, v[8:9], off
	v_add_nc_u32_e32 v18, -1, v18
	s_wait_xcnt 0x0
	v_add_nc_u64_e32 v[8:9], s[24:25], v[8:9]
	s_wait_loadcnt 0x0
	v_lshlrev_b32_e32 v19, 16, v19
	v_cmp_eq_u32_e64 s2, 0, v18
	s_delay_alu instid0(VALU_DEP_2) | instskip(SKIP_1) | instid1(SALU_CYCLE_1)
	v_add_f32_e32 v16, v16, v19
	s_or_b32 s41, s2, s41
	s_and_not1_b32 exec_lo, exec_lo, s41
	s_cbranch_execnz .LBB7_20
; %bb.21:                               ;   in Loop: Header=BB7_18 Depth=3
	s_or_b32 exec_lo, exec_lo, s41
	s_branch .LBB7_17
.LBB7_22:
	s_endpgm
	.section	.rodata,"a",@progbits
	.p2align	6, 0x0
	.amdhsa_kernel _ZN2at6native12_GLOBAL__N_121adaptive_average_poolIN3c108BFloat16EEEvPKT_PS5_iiiilll
		.amdhsa_group_segment_fixed_size 0
		.amdhsa_private_segment_fixed_size 0
		.amdhsa_kernarg_size 312
		.amdhsa_user_sgpr_count 2
		.amdhsa_user_sgpr_dispatch_ptr 0
		.amdhsa_user_sgpr_queue_ptr 0
		.amdhsa_user_sgpr_kernarg_segment_ptr 1
		.amdhsa_user_sgpr_dispatch_id 0
		.amdhsa_user_sgpr_kernarg_preload_length 0
		.amdhsa_user_sgpr_kernarg_preload_offset 0
		.amdhsa_user_sgpr_private_segment_size 0
		.amdhsa_wavefront_size32 1
		.amdhsa_uses_dynamic_stack 0
		.amdhsa_enable_private_segment 0
		.amdhsa_system_sgpr_workgroup_id_x 1
		.amdhsa_system_sgpr_workgroup_id_y 1
		.amdhsa_system_sgpr_workgroup_id_z 0
		.amdhsa_system_sgpr_workgroup_info 0
		.amdhsa_system_vgpr_workitem_id 1
		.amdhsa_next_free_vgpr 26
		.amdhsa_next_free_sgpr 52
		.amdhsa_named_barrier_count 0
		.amdhsa_reserve_vcc 1
		.amdhsa_float_round_mode_32 0
		.amdhsa_float_round_mode_16_64 0
		.amdhsa_float_denorm_mode_32 3
		.amdhsa_float_denorm_mode_16_64 3
		.amdhsa_fp16_overflow 0
		.amdhsa_memory_ordered 1
		.amdhsa_forward_progress 1
		.amdhsa_inst_pref_size 25
		.amdhsa_round_robin_scheduling 0
		.amdhsa_exception_fp_ieee_invalid_op 0
		.amdhsa_exception_fp_denorm_src 0
		.amdhsa_exception_fp_ieee_div_zero 0
		.amdhsa_exception_fp_ieee_overflow 0
		.amdhsa_exception_fp_ieee_underflow 0
		.amdhsa_exception_fp_ieee_inexact 0
		.amdhsa_exception_int_div_zero 0
	.end_amdhsa_kernel
	.section	.text._ZN2at6native12_GLOBAL__N_121adaptive_average_poolIN3c108BFloat16EEEvPKT_PS5_iiiilll,"axG",@progbits,_ZN2at6native12_GLOBAL__N_121adaptive_average_poolIN3c108BFloat16EEEvPKT_PS5_iiiilll,comdat
.Lfunc_end7:
	.size	_ZN2at6native12_GLOBAL__N_121adaptive_average_poolIN3c108BFloat16EEEvPKT_PS5_iiiilll, .Lfunc_end7-_ZN2at6native12_GLOBAL__N_121adaptive_average_poolIN3c108BFloat16EEEvPKT_PS5_iiiilll
                                        ; -- End function
	.set _ZN2at6native12_GLOBAL__N_121adaptive_average_poolIN3c108BFloat16EEEvPKT_PS5_iiiilll.num_vgpr, 26
	.set _ZN2at6native12_GLOBAL__N_121adaptive_average_poolIN3c108BFloat16EEEvPKT_PS5_iiiilll.num_agpr, 0
	.set _ZN2at6native12_GLOBAL__N_121adaptive_average_poolIN3c108BFloat16EEEvPKT_PS5_iiiilll.numbered_sgpr, 52
	.set _ZN2at6native12_GLOBAL__N_121adaptive_average_poolIN3c108BFloat16EEEvPKT_PS5_iiiilll.num_named_barrier, 0
	.set _ZN2at6native12_GLOBAL__N_121adaptive_average_poolIN3c108BFloat16EEEvPKT_PS5_iiiilll.private_seg_size, 0
	.set _ZN2at6native12_GLOBAL__N_121adaptive_average_poolIN3c108BFloat16EEEvPKT_PS5_iiiilll.uses_vcc, 1
	.set _ZN2at6native12_GLOBAL__N_121adaptive_average_poolIN3c108BFloat16EEEvPKT_PS5_iiiilll.uses_flat_scratch, 0
	.set _ZN2at6native12_GLOBAL__N_121adaptive_average_poolIN3c108BFloat16EEEvPKT_PS5_iiiilll.has_dyn_sized_stack, 0
	.set _ZN2at6native12_GLOBAL__N_121adaptive_average_poolIN3c108BFloat16EEEvPKT_PS5_iiiilll.has_recursion, 0
	.set _ZN2at6native12_GLOBAL__N_121adaptive_average_poolIN3c108BFloat16EEEvPKT_PS5_iiiilll.has_indirect_call, 0
	.section	.AMDGPU.csdata,"",@progbits
; Kernel info:
; codeLenInByte = 3076
; TotalNumSgprs: 54
; NumVgprs: 26
; ScratchSize: 0
; MemoryBound: 0
; FloatMode: 240
; IeeeMode: 1
; LDSByteSize: 0 bytes/workgroup (compile time only)
; SGPRBlocks: 0
; VGPRBlocks: 1
; NumSGPRsForWavesPerEU: 54
; NumVGPRsForWavesPerEU: 26
; NamedBarCnt: 0
; Occupancy: 16
; WaveLimiterHint : 0
; COMPUTE_PGM_RSRC2:SCRATCH_EN: 0
; COMPUTE_PGM_RSRC2:USER_SGPR: 2
; COMPUTE_PGM_RSRC2:TRAP_HANDLER: 0
; COMPUTE_PGM_RSRC2:TGID_X_EN: 1
; COMPUTE_PGM_RSRC2:TGID_Y_EN: 1
; COMPUTE_PGM_RSRC2:TGID_Z_EN: 0
; COMPUTE_PGM_RSRC2:TIDIG_COMP_CNT: 1
	.section	.text._ZN2at6native12_GLOBAL__N_131adaptive_average_gradinput_nhwcIidEEvPT0_PKS3_iiiiiiiiT_S7_S7_S7_,"axG",@progbits,_ZN2at6native12_GLOBAL__N_131adaptive_average_gradinput_nhwcIidEEvPT0_PKS3_iiiiiiiiT_S7_S7_S7_,comdat
	.globl	_ZN2at6native12_GLOBAL__N_131adaptive_average_gradinput_nhwcIidEEvPT0_PKS3_iiiiiiiiT_S7_S7_S7_ ; -- Begin function _ZN2at6native12_GLOBAL__N_131adaptive_average_gradinput_nhwcIidEEvPT0_PKS3_iiiiiiiiT_S7_S7_S7_
	.p2align	8
	.type	_ZN2at6native12_GLOBAL__N_131adaptive_average_gradinput_nhwcIidEEvPT0_PKS3_iiiiiiiiT_S7_S7_S7_,@function
_ZN2at6native12_GLOBAL__N_131adaptive_average_gradinput_nhwcIidEEvPT0_PKS3_iiiiiiiiT_S7_S7_S7_: ; @_ZN2at6native12_GLOBAL__N_131adaptive_average_gradinput_nhwcIidEEvPT0_PKS3_iiiiiiiiT_S7_S7_S7_
; %bb.0:
	s_clause 0x1
	s_load_b128 s[16:19], s[0:1], 0x44
	s_load_b128 s[12:15], s[0:1], 0x30
	v_bfe_u32 v2, v0, 10, 10
	v_bfe_u32 v5, v0, 20, 10
	s_load_b256 s[4:11], s[0:1], 0x10
	v_and_b32_e32 v3, 0x3ff, v0
	s_mov_b32 s3, exec_lo
	s_wait_kmcnt 0x0
	s_lshr_b32 s24, s18, 16
	s_and_b32 s26, s18, 0xffff
	v_mad_u32_u24 v4, v5, s24, v2
	s_and_b32 s25, s19, 0xffff
	s_mul_i32 s27, s24, s26
	s_delay_alu instid0(SALU_CYCLE_1) | instskip(NEXT) | instid1(VALU_DEP_1)
	s_mul_i32 s27, s27, s25
	v_mad_u32 v6, v4, s26, v3
	s_delay_alu instid0(VALU_DEP_1)
	v_cmpx_gt_i32_e64 s7, v6
	s_cbranch_execz .LBB8_3
; %bb.1:
	s_abs_i32 s20, s7
	v_mul_lo_u32 v7, s9, v6
	s_cvt_f32_u32 s2, s20
	s_sub_co_i32 s29, 0, s20
	s_mul_i32 s28, s9, s24
	v_lshl_add_u32 v8, v6, 2, 0
	v_rcp_iflag_f32_e32 v0, s2
	s_add_co_i32 s2, s7, s9
	v_dual_mov_b32 v1, 0 :: v_dual_mov_b32 v9, v6
	s_mov_b32 s19, 0
	s_mul_i32 s30, s28, s26
	s_delay_alu instid0(VALU_DEP_3) | instskip(NEXT) | instid1(TRANS32_DEP_1)
	v_add3_u32 v10, s2, v7, -1
	v_readfirstlane_b32 s18, v0
	s_ashr_i32 s21, s7, 31
	s_lshl_b32 s22, s27, 2
	s_lshl_b32 s23, s7, 2
	s_mov_b32 s28, s19
	s_mul_f32 s18, s18, 0x4f7ffffe
	s_delay_alu instid0(SALU_CYCLE_3) | instskip(NEXT) | instid1(SALU_CYCLE_3)
	s_cvt_u32_f32 s18, s18
	s_mul_i32 s29, s29, s18
	s_delay_alu instid0(SALU_CYCLE_1)
	s_mul_hi_u32 s2, s18, s29
	s_mul_i32 s29, s30, s25
	s_add_co_i32 s18, s18, s2
	s_mov_b32 s30, s19
.LBB8_2:                                ; =>This Inner Loop Header: Depth=1
	s_delay_alu instid0(SALU_CYCLE_1) | instskip(SKIP_1) | instid1(VALU_DEP_1)
	v_dual_add_nc_u32 v11, s30, v7 :: v_dual_add_nc_u32 v16, s30, v10
	s_add_co_i32 s30, s30, s29
	v_dual_add_nc_u32 v9, s27, v9 :: v_dual_sub_nc_u32 v0, 0, v11
	s_delay_alu instid0(VALU_DEP_2) | instskip(NEXT) | instid1(VALU_DEP_2)
	v_sub_nc_u32_e32 v14, 0, v16
	v_dual_ashrrev_i32 v11, 31, v11 :: v_dual_max_i32 v0, v11, v0
	s_delay_alu instid0(VALU_DEP_1) | instskip(NEXT) | instid1(VALU_DEP_2)
	v_mul_u64_e32 v[12:13], s[18:19], v[0:1]
	v_xor_b32_e32 v11, s21, v11
	s_delay_alu instid0(VALU_DEP_2) | instskip(NEXT) | instid1(VALU_DEP_1)
	v_mul_lo_u32 v12, v13, s20
	v_sub_nc_u32_e32 v12, v0, v12
	v_max_i32_e32 v0, v16, v14
	s_delay_alu instid0(VALU_DEP_2) | instskip(NEXT) | instid1(VALU_DEP_2)
	v_cmp_le_u32_e32 vcc_lo, s20, v12
	v_mul_u64_e32 v[14:15], s[18:19], v[0:1]
	v_dual_ashrrev_i32 v14, 31, v16 :: v_dual_add_nc_u32 v16, 1, v13
	v_subrev_nc_u32_e32 v17, s20, v12
	s_delay_alu instid0(VALU_DEP_2) | instskip(NEXT) | instid1(VALU_DEP_2)
	v_dual_cndmask_b32 v13, v13, v16, vcc_lo :: v_dual_bitop2_b32 v14, s21, v14 bitop3:0x14
	v_cndmask_b32_e32 v12, v12, v17, vcc_lo
	s_delay_alu instid0(VALU_DEP_2) | instskip(NEXT) | instid1(VALU_DEP_2)
	v_add_nc_u32_e32 v16, 1, v13
	v_cmp_le_u32_e64 s2, s20, v12
	v_mul_lo_u32 v18, v15, s20
	s_delay_alu instid0(VALU_DEP_2) | instskip(NEXT) | instid1(VALU_DEP_2)
	v_dual_add_nc_u32 v17, 1, v15 :: v_dual_cndmask_b32 v13, v13, v16, s2
	v_sub_nc_u32_e32 v0, v0, v18
	s_delay_alu instid0(VALU_DEP_1) | instskip(NEXT) | instid1(VALU_DEP_3)
	v_cmp_le_u32_e32 vcc_lo, s20, v0
	v_cndmask_b32_e32 v15, v15, v17, vcc_lo
	v_subrev_nc_u32_e32 v18, s20, v0
	s_delay_alu instid0(VALU_DEP_1) | instskip(NEXT) | instid1(VALU_DEP_1)
	v_dual_add_nc_u32 v12, 1, v15 :: v_dual_cndmask_b32 v0, v0, v18, vcc_lo
	v_cmp_le_u32_e32 vcc_lo, s20, v0
	s_delay_alu instid0(VALU_DEP_2) | instskip(SKIP_1) | instid1(VALU_DEP_2)
	v_dual_cndmask_b32 v0, v15, v12, vcc_lo :: v_dual_bitop2_b32 v12, v13, v11 bitop3:0x14
	v_cmp_le_i32_e32 vcc_lo, s7, v9
	v_xor_b32_e32 v0, v0, v14
	s_delay_alu instid0(VALU_DEP_3) | instskip(SKIP_1) | instid1(VALU_DEP_2)
	v_dual_sub_nc_u32 v11, v12, v11 :: v_dual_add_nc_u32 v12, s23, v8
	s_or_b32 s28, vcc_lo, s28
	v_sub_nc_u32_e32 v0, v0, v14
	ds_store_b32 v8, v11
	v_add_nc_u32_e32 v8, s22, v8
	ds_store_b32 v12, v0
	s_and_not1_b32 exec_lo, exec_lo, s28
	s_cbranch_execnz .LBB8_2
.LBB8_3:
	s_or_b32 exec_lo, exec_lo, s3
	s_load_b128 s[20:23], s[0:1], 0x0
	v_lshlrev_b32_e32 v7, 3, v6
	s_wait_xcnt 0x0
	s_mov_b32 s1, exec_lo
	v_cmpx_gt_i32_e64 s8, v6
	s_cbranch_execz .LBB8_6
; %bb.4:
	s_abs_i32 s18, s8
	v_mul_lo_u32 v8, s6, v6
	s_cvt_f32_u32 s0, s18
	s_lshl_b32 s30, s9, 3
	s_lshl_b32 s31, s7, 3
	s_sub_co_i32 s33, 0, s18
	v_rcp_iflag_f32_e32 v0, s0
	s_add_co_i32 s2, s8, s6
	s_add_co_i32 s30, s30, s31
	s_mul_i32 s0, s6, s24
	v_dual_mov_b32 v1, 0 :: v_dual_mov_b32 v9, v6
	v_add3_u32 v10, 0, s30, v7
	s_delay_alu instid0(TRANS32_DEP_1)
	v_readfirstlane_b32 s29, v0
	v_add3_u32 v11, s2, v8, -1
	s_mov_b32 s3, 0
	s_mul_i32 s0, s0, s26
	s_ashr_i32 s19, s8, 31
	s_mul_f32 s29, s29, 0x4f7ffffe
	s_lshl_b32 s28, s27, 3
	s_mul_i32 s30, s0, s25
	s_mov_b32 s31, s3
	s_cvt_u32_f32 s34, s29
	s_mov_b32 s29, s3
	s_delay_alu instid0(SALU_CYCLE_2) | instskip(NEXT) | instid1(SALU_CYCLE_1)
	s_mul_i32 s33, s33, s34
	s_mul_hi_u32 s2, s34, s33
	s_delay_alu instid0(SALU_CYCLE_1)
	s_add_co_i32 s2, s34, s2
.LBB8_5:                                ; =>This Inner Loop Header: Depth=1
	v_dual_add_nc_u32 v16, s31, v11 :: v_dual_add_nc_u32 v17, s31, v8
	s_add_co_i32 s31, s31, s30
	s_delay_alu instid0(VALU_DEP_1) | instskip(NEXT) | instid1(VALU_DEP_1)
	v_dual_add_nc_u32 v9, s27, v9 :: v_dual_sub_nc_u32 v0, 0, v16
	v_dual_sub_nc_u32 v14, 0, v17 :: v_dual_max_i32 v0, v16, v0
	s_delay_alu instid0(VALU_DEP_1) | instskip(NEXT) | instid1(VALU_DEP_1)
	v_mul_u64_e32 v[12:13], s[2:3], v[0:1]
	v_mul_lo_u32 v12, v13, s18
	s_delay_alu instid0(VALU_DEP_1) | instskip(NEXT) | instid1(VALU_DEP_4)
	v_dual_add_nc_u32 v18, 1, v13 :: v_dual_sub_nc_u32 v12, v0, v12
	v_max_i32_e32 v0, v17, v14
	s_delay_alu instid0(VALU_DEP_2) | instskip(NEXT) | instid1(VALU_DEP_2)
	v_cmp_le_u32_e32 vcc_lo, s18, v12
	v_mul_u64_e32 v[14:15], s[2:3], v[0:1]
	v_dual_ashrrev_i32 v14, 31, v16 :: v_dual_ashrrev_i32 v16, 31, v17
	s_delay_alu instid0(VALU_DEP_1) | instskip(NEXT) | instid1(VALU_DEP_2)
	v_dual_cndmask_b32 v13, v13, v18, vcc_lo :: v_dual_bitop2_b32 v16, s19, v16 bitop3:0x14
	v_xor_b32_e32 v14, s19, v14
	s_delay_alu instid0(VALU_DEP_4) | instskip(NEXT) | instid1(VALU_DEP_1)
	v_mul_lo_u32 v17, v15, s18
	v_dual_add_nc_u32 v18, 1, v15 :: v_dual_sub_nc_u32 v0, v0, v17
	v_subrev_nc_u32_e32 v17, s18, v12
	s_delay_alu instid0(VALU_DEP_2) | instskip(NEXT) | instid1(VALU_DEP_1)
	v_cmp_le_u32_e64 s0, s18, v0
	v_cndmask_b32_e64 v15, v15, v18, s0
	v_subrev_nc_u32_e32 v19, s18, v0
	s_delay_alu instid0(VALU_DEP_4) | instskip(NEXT) | instid1(VALU_DEP_3)
	v_cndmask_b32_e32 v12, v12, v17, vcc_lo
	v_dual_add_nc_u32 v17, 1, v13 :: v_dual_add_nc_u32 v18, 1, v15
	s_delay_alu instid0(VALU_DEP_3) | instskip(NEXT) | instid1(VALU_DEP_3)
	v_cndmask_b32_e64 v0, v0, v19, s0
	v_cmp_le_u32_e32 vcc_lo, s18, v12
	s_delay_alu instid0(VALU_DEP_3) | instskip(NEXT) | instid1(VALU_DEP_3)
	v_cndmask_b32_e32 v12, v13, v17, vcc_lo
	v_cmp_le_u32_e32 vcc_lo, s18, v0
	v_cndmask_b32_e32 v0, v15, v18, vcc_lo
	s_delay_alu instid0(VALU_DEP_3) | instskip(NEXT) | instid1(VALU_DEP_2)
	v_xor_b32_e32 v12, v12, v14
	v_xor_b32_e32 v0, v0, v16
	s_delay_alu instid0(VALU_DEP_2) | instskip(NEXT) | instid1(VALU_DEP_2)
	v_sub_nc_u32_e32 v12, v12, v14
	v_sub_nc_u32_e32 v0, v16, v0
	s_delay_alu instid0(VALU_DEP_1) | instskip(NEXT) | instid1(VALU_DEP_1)
	v_add_nc_u32_e32 v0, v12, v0
	v_cvt_f64_i32_e32 v[12:13], v0
	s_delay_alu instid0(VALU_DEP_1) | instskip(SKIP_1) | instid1(VALU_DEP_2)
	v_div_scale_f64 v[14:15], null, v[12:13], v[12:13], 1.0
	v_div_scale_f64 v[20:21], vcc_lo, 1.0, v[12:13], 1.0
	v_rcp_f64_e32 v[16:17], v[14:15]
	v_nop
	s_delay_alu instid0(TRANS32_DEP_1) | instskip(NEXT) | instid1(VALU_DEP_1)
	v_fma_f64 v[18:19], -v[14:15], v[16:17], 1.0
	v_fmac_f64_e32 v[16:17], v[16:17], v[18:19]
	s_delay_alu instid0(VALU_DEP_1) | instskip(NEXT) | instid1(VALU_DEP_1)
	v_fma_f64 v[18:19], -v[14:15], v[16:17], 1.0
	v_fmac_f64_e32 v[16:17], v[16:17], v[18:19]
	s_delay_alu instid0(VALU_DEP_1) | instskip(NEXT) | instid1(VALU_DEP_1)
	v_mul_f64_e32 v[18:19], v[20:21], v[16:17]
	v_fma_f64 v[14:15], -v[14:15], v[18:19], v[20:21]
	s_delay_alu instid0(VALU_DEP_1) | instskip(SKIP_2) | instid1(VALU_DEP_2)
	v_div_fmas_f64 v[14:15], v[14:15], v[16:17], v[18:19]
	v_cmp_le_i32_e32 vcc_lo, s8, v9
	s_or_b32 s29, vcc_lo, s29
	v_div_fixup_f64 v[12:13], v[14:15], v[12:13], 1.0
	ds_store_b64 v10, v[12:13]
	v_add_nc_u32_e32 v10, s28, v10
	s_and_not1_b32 exec_lo, exec_lo, s29
	s_cbranch_execnz .LBB8_5
.LBB8_6:
	s_or_b32 exec_lo, exec_lo, s1
	s_delay_alu instid0(SALU_CYCLE_1)
	s_mov_b32 s1, exec_lo
	v_cmpx_gt_i32_e64 s9, v6
	s_cbranch_execz .LBB8_9
; %bb.7:
	s_abs_i32 s18, s9
	v_mul_lo_u32 v8, s7, v6
	s_cvt_f32_u32 s0, s18
	s_sub_co_i32 s31, 0, s18
	s_add_co_i32 s30, s9, s7
	s_lshl_b32 s29, s7, 3
	v_rcp_iflag_f32_e32 v0, s0
	s_mul_i32 s2, s7, s24
	v_dual_mov_b32 v1, 0 :: v_dual_mov_b32 v9, v6
	v_add3_u32 v10, 0, s29, v7
	s_mov_b32 s3, 0
	s_delay_alu instid0(VALU_DEP_3) | instskip(NEXT) | instid1(TRANS32_DEP_1)
	v_add3_u32 v11, s30, v8, -1
	v_readfirstlane_b32 s0, v0
	s_mul_i32 s2, s2, s26
	s_ashr_i32 s19, s9, 31
	s_lshl_b32 s28, s27, 3
	s_mov_b32 s29, s3
	s_mul_f32 s0, s0, 0x4f7ffffe
	s_mul_i32 s30, s2, s25
	s_delay_alu instid0(SALU_CYCLE_2) | instskip(NEXT) | instid1(SALU_CYCLE_3)
	s_cvt_u32_f32 s0, s0
	s_mul_i32 s31, s31, s0
	s_delay_alu instid0(SALU_CYCLE_1) | instskip(NEXT) | instid1(SALU_CYCLE_1)
	s_mul_hi_u32 s31, s0, s31
	s_add_co_i32 s2, s0, s31
	s_mov_b32 s31, s3
.LBB8_8:                                ; =>This Inner Loop Header: Depth=1
	s_delay_alu instid0(SALU_CYCLE_1) | instskip(SKIP_1) | instid1(VALU_DEP_1)
	v_dual_add_nc_u32 v16, s31, v11 :: v_dual_add_nc_u32 v17, s31, v8
	s_add_co_i32 s31, s31, s30
	v_dual_add_nc_u32 v9, s27, v9 :: v_dual_sub_nc_u32 v0, 0, v16
	s_delay_alu instid0(VALU_DEP_1) | instskip(NEXT) | instid1(VALU_DEP_1)
	v_dual_sub_nc_u32 v14, 0, v17 :: v_dual_max_i32 v0, v16, v0
	v_mul_u64_e32 v[12:13], s[2:3], v[0:1]
	s_delay_alu instid0(VALU_DEP_1) | instskip(NEXT) | instid1(VALU_DEP_1)
	v_mul_lo_u32 v12, v13, s18
	v_dual_add_nc_u32 v18, 1, v13 :: v_dual_sub_nc_u32 v12, v0, v12
	s_delay_alu instid0(VALU_DEP_4) | instskip(NEXT) | instid1(VALU_DEP_2)
	v_max_i32_e32 v0, v17, v14
	v_cmp_le_u32_e32 vcc_lo, s18, v12
	s_delay_alu instid0(VALU_DEP_2) | instskip(SKIP_1) | instid1(VALU_DEP_1)
	v_mul_u64_e32 v[14:15], s[2:3], v[0:1]
	v_dual_ashrrev_i32 v14, 31, v16 :: v_dual_ashrrev_i32 v16, 31, v17
	v_dual_cndmask_b32 v13, v13, v18, vcc_lo :: v_dual_bitop2_b32 v16, s19, v16 bitop3:0x14
	s_delay_alu instid0(VALU_DEP_2) | instskip(NEXT) | instid1(VALU_DEP_4)
	v_xor_b32_e32 v14, s19, v14
	v_mul_lo_u32 v17, v15, s18
	s_delay_alu instid0(VALU_DEP_1) | instskip(SKIP_1) | instid1(VALU_DEP_2)
	v_dual_add_nc_u32 v18, 1, v15 :: v_dual_sub_nc_u32 v0, v0, v17
	v_subrev_nc_u32_e32 v17, s18, v12
	v_cmp_le_u32_e64 s0, s18, v0
	s_delay_alu instid0(VALU_DEP_1) | instskip(SKIP_1) | instid1(VALU_DEP_4)
	v_cndmask_b32_e64 v15, v15, v18, s0
	v_subrev_nc_u32_e32 v19, s18, v0
	v_cndmask_b32_e32 v12, v12, v17, vcc_lo
	s_delay_alu instid0(VALU_DEP_3) | instskip(NEXT) | instid1(VALU_DEP_3)
	v_dual_add_nc_u32 v17, 1, v13 :: v_dual_add_nc_u32 v18, 1, v15
	v_cndmask_b32_e64 v0, v0, v19, s0
	s_delay_alu instid0(VALU_DEP_3) | instskip(NEXT) | instid1(VALU_DEP_3)
	v_cmp_le_u32_e32 vcc_lo, s18, v12
	v_cndmask_b32_e32 v12, v13, v17, vcc_lo
	s_delay_alu instid0(VALU_DEP_3) | instskip(SKIP_1) | instid1(VALU_DEP_3)
	v_cmp_le_u32_e32 vcc_lo, s18, v0
	v_cndmask_b32_e32 v0, v15, v18, vcc_lo
	v_xor_b32_e32 v12, v12, v14
	s_delay_alu instid0(VALU_DEP_2) | instskip(NEXT) | instid1(VALU_DEP_2)
	v_xor_b32_e32 v0, v0, v16
	v_sub_nc_u32_e32 v12, v12, v14
	s_delay_alu instid0(VALU_DEP_2) | instskip(NEXT) | instid1(VALU_DEP_1)
	v_sub_nc_u32_e32 v0, v16, v0
	v_add_nc_u32_e32 v0, v12, v0
	s_delay_alu instid0(VALU_DEP_1) | instskip(NEXT) | instid1(VALU_DEP_1)
	v_cvt_f64_i32_e32 v[12:13], v0
	v_div_scale_f64 v[14:15], null, v[12:13], v[12:13], 1.0
	v_div_scale_f64 v[20:21], vcc_lo, 1.0, v[12:13], 1.0
	s_delay_alu instid0(VALU_DEP_2) | instskip(SKIP_1) | instid1(TRANS32_DEP_1)
	v_rcp_f64_e32 v[16:17], v[14:15]
	v_nop
	v_fma_f64 v[18:19], -v[14:15], v[16:17], 1.0
	s_delay_alu instid0(VALU_DEP_1) | instskip(NEXT) | instid1(VALU_DEP_1)
	v_fmac_f64_e32 v[16:17], v[16:17], v[18:19]
	v_fma_f64 v[18:19], -v[14:15], v[16:17], 1.0
	s_delay_alu instid0(VALU_DEP_1) | instskip(NEXT) | instid1(VALU_DEP_1)
	v_fmac_f64_e32 v[16:17], v[16:17], v[18:19]
	v_mul_f64_e32 v[18:19], v[20:21], v[16:17]
	s_delay_alu instid0(VALU_DEP_1) | instskip(NEXT) | instid1(VALU_DEP_1)
	v_fma_f64 v[14:15], -v[14:15], v[18:19], v[20:21]
	v_div_fmas_f64 v[14:15], v[14:15], v[16:17], v[18:19]
	v_cmp_le_i32_e32 vcc_lo, s9, v9
	s_or_b32 s29, vcc_lo, s29
	s_delay_alu instid0(VALU_DEP_2)
	v_div_fixup_f64 v[12:13], v[14:15], v[12:13], 1.0
	ds_store_b64 v10, v[12:13]
	v_add_nc_u32_e32 v10, s28, v10
	s_and_not1_b32 exec_lo, exec_lo, s29
	s_cbranch_execnz .LBB8_8
.LBB8_9:
	s_or_b32 exec_lo, exec_lo, s1
	s_cvt_f32_u32 s0, s4
	s_and_b32 s2, ttmp6, 15
	s_getreg_b32 s18, hwreg(HW_REG_IB_STS2, 6, 4)
	s_mul_i32 s19, s27, s11
	v_rcp_iflag_f32_e32 v0, s0
	s_bfe_u32 s0, ttmp6, 0x4000c
	s_mov_b32 s28, exec_lo
	s_add_co_i32 s0, s0, 1
	s_delay_alu instid0(SALU_CYCLE_1) | instskip(NEXT) | instid1(SALU_CYCLE_1)
	s_mul_i32 s0, ttmp9, s0
	s_add_co_i32 s2, s2, s0
	v_nop
	v_readfirstlane_b32 s1, v0
	s_cmp_eq_u32 s18, 0
	s_cselect_b32 s0, ttmp9, s2
	s_mul_f32 s1, s1, 0x4f7ffffe
	s_delay_alu instid0(SALU_CYCLE_3) | instskip(SKIP_1) | instid1(SALU_CYCLE_2)
	s_cvt_u32_f32 s3, s1
	s_sub_co_i32 s1, 0, s4
	s_mul_i32 s1, s1, s3
	s_delay_alu instid0(SALU_CYCLE_1)
	s_mul_hi_u32 s2, s3, s1
	s_mov_b32 s1, 0
	s_add_co_i32 s2, s3, s2
	s_mov_b32 s3, s1
	v_cmpx_gt_u32_e64 s19, v6
	s_cbranch_execz .LBB8_12
; %bb.10:
	s_lshl_b32 s29, s9, 3
	s_lshl_b32 s30, s8, 3
	;; [unrolled: 1-line block ×3, first 2 shown]
	s_add_co_i32 s29, s29, s30
	v_mov_b64_e32 v[0:1], 0
	s_add_co_i32 s29, s29, s31
	s_mov_b32 s30, s1
	v_add3_u32 v7, 0, s29, v7
	s_lshl_b32 s29, s27, 3
.LBB8_11:                               ; =>This Inner Loop Header: Depth=1
	v_add_nc_u32_e32 v6, s27, v6
	ds_store_b64 v7, v[0:1]
	v_add_nc_u32_e32 v7, s29, v7
	v_cmp_le_u32_e32 vcc_lo, s19, v6
	s_or_b32 s30, vcc_lo, s30
	s_delay_alu instid0(SALU_CYCLE_1)
	s_and_not1_b32 exec_lo, exec_lo, s30
	s_cbranch_execnz .LBB8_11
.LBB8_12:
	s_or_b32 exec_lo, exec_lo, s28
	s_mul_u64 s[2:3], s[0:1], s[2:3]
	s_cvt_f32_u32 s1, s17
	s_wait_dscnt 0x0
	s_barrier_signal -1
	s_barrier_wait -1
	v_rcp_iflag_f32_e32 v0, s1
	v_nop
	s_delay_alu instid0(TRANS32_DEP_1) | instskip(SKIP_1) | instid1(SALU_CYCLE_3)
	v_readfirstlane_b32 s1, v0
	s_mul_f32 s1, s1, 0x4f7ffffe
	s_cvt_u32_f32 s2, s1
	s_sub_co_i32 s1, 0, s17
	s_delay_alu instid0(SALU_CYCLE_2) | instskip(SKIP_4) | instid1(SALU_CYCLE_1)
	s_mul_i32 s19, s1, s2
	s_add_co_i32 s1, s6, -1
	s_mul_hi_u32 s19, s2, s19
	s_add_co_i32 s27, s1, s17
	s_add_co_i32 s2, s2, s19
	s_mul_hi_u32 s2, s27, s2
	s_delay_alu instid0(SALU_CYCLE_1) | instskip(NEXT) | instid1(SALU_CYCLE_1)
	s_mul_i32 s19, s2, s17
	s_sub_co_i32 s19, s27, s19
	s_add_co_i32 s27, s2, 1
	s_sub_co_i32 s28, s19, s17
	s_cmp_ge_u32 s19, s17
	s_cselect_b32 s2, s27, s2
	s_cselect_b32 s19, s28, s19
	s_add_co_i32 s27, s2, 1
	s_cmp_ge_u32 s19, s17
	s_cselect_b32 s2, s27, s2
	s_bfe_u32 s19, ttmp6, 0x40014
	s_bfe_u32 s29, ttmp6, 0x40010
	s_lshr_b32 s17, ttmp7, 16
	s_and_b32 s28, ttmp7, 0xffff
	s_add_co_i32 s19, s19, 1
	s_add_co_i32 s29, s29, 1
	s_bfe_u32 s27, ttmp6, 0x40008
	s_bfe_u32 s30, ttmp6, 0x40004
	s_mul_i32 s19, s17, s19
	s_mul_i32 s29, s28, s29
	s_add_co_i32 s27, s27, s19
	s_add_co_i32 s30, s30, s29
	s_cmp_eq_u32 s18, 0
	s_mov_b32 s19, 0
	s_cselect_b32 s17, s17, s27
	s_mov_b32 s18, exec_lo
	v_mad_u32 v12, s2, s17, v5
	s_cvt_f32_u32 s17, s16
	s_delay_alu instid0(SALU_CYCLE_3) | instskip(NEXT) | instid1(VALU_DEP_1)
	v_rcp_iflag_f32_e32 v0, s17
	v_add_min_i32_e64 v13, v12, s2, s6
	s_delay_alu instid0(TRANS32_DEP_1)
	v_readfirstlane_b32 s17, v0
	s_cselect_b32 s2, s28, s30
	v_cmpx_lt_i32_e64 v12, v13
	s_cbranch_execz .LBB8_30
; %bb.13:
	s_mul_f32 s17, s17, 0x4f7ffffe
	s_sub_co_i32 s27, 0, s16
	s_mul_i32 s28, s3, s4
	s_add_co_i32 s18, s7, s16
	s_cvt_u32_f32 s17, s17
	s_sub_co_i32 s31, s0, s28
	s_add_co_i32 s30, s3, 1
	s_add_co_i32 s18, s18, -1
	s_mul_i32 s27, s27, s17
	s_sub_co_i32 s33, s31, s4
	s_mul_hi_u32 s27, s17, s27
	s_mov_b32 s29, s19
	s_add_co_i32 s28, s17, s27
	s_cmp_ge_u32 s31, s4
	s_mul_u64 s[28:29], s[18:19], s[28:29]
	s_cselect_b32 s3, s30, s3
	s_cselect_b32 s17, s33, s31
	s_add_co_i32 s27, s3, 1
	s_cmp_ge_u32 s17, s4
	s_mul_i32 s17, s6, s5
	s_cselect_b32 s3, s27, s3
	s_mul_i32 s17, s17, s7
	s_mul_i32 s4, s3, s4
	v_mul_lo_u32 v0, s11, v4
	s_sub_co_i32 s0, s0, s4
	s_mul_i32 s4, s29, s16
	s_mul_i32 s30, s17, s0
	;; [unrolled: 1-line block ×3, first 2 shown]
	s_ashr_i32 s31, s30, 31
	s_ashr_i32 s35, s34, 31
	s_sub_co_i32 s0, s18, s4
	s_lshl_b64 s[30:31], s[30:31], 3
	s_lshl_b64 s[34:35], s[34:35], 3
	s_add_co_i32 s4, s29, 1
	s_sub_co_i32 s11, s0, s16
	s_cmp_ge_u32 s0, s16
	v_mad_u32 v14, s3, s26, v3
	s_cselect_b32 s4, s4, s29
	s_cselect_b32 s0, s11, s0
	s_add_co_i32 s11, s4, 1
	s_cmp_ge_u32 s0, s16
	v_lshlrev_b32_e32 v1, 3, v3
	s_cselect_b32 s0, s11, s4
	s_abs_i32 s4, s6
	v_mad_u32 v15, s0, s2, v2
	s_cvt_f32_u32 s11, s4
	v_mul_lo_u32 v0, v0, s26
	s_lshl_b32 s3, s7, 2
	s_sub_co_i32 s18, 0, s4
	v_rcp_iflag_f32_e32 v3, s11
	s_wait_kmcnt 0x0
	s_add_nc_u64 s[16:17], s[22:23], s[34:35]
	s_lshl_b32 s23, s9, 3
	s_add_co_i32 s9, s3, 0
	s_mul_i32 s12, s10, s26
	s_add_nc_u64 s[10:11], s[20:21], s[30:31]
	s_add_co_i32 s20, s9, s3
	v_nop
	v_readfirstlane_b32 s2, v3
	v_mul_lo_u32 v16, s13, v14
	v_add_min_i32_e64 v17, v15, s0, s7
	v_mov_b32_e32 v3, 0
	v_lshl_add_u32 v4, v0, 3, v1
	s_mul_f32 s2, s2, 0x4f7ffffe
	v_mov_b64_e32 v[0:1], 0
	v_cmp_lt_i32_e64 s0, v15, v17
	s_ashr_i32 s6, s6, 31
	s_cvt_u32_f32 s2, s2
	s_add_co_i32 s21, s20, s23
	s_add_co_i32 s22, s8, s1
	s_mul_i32 s13, s12, s13
	s_mul_i32 s18, s18, s2
	v_cmp_gt_i32_e32 vcc_lo, s5, v14
	s_mul_hi_u32 s3, s2, s18
	s_delay_alu instid0(SALU_CYCLE_1) | instskip(SKIP_3) | instid1(SALU_CYCLE_1)
	s_add_co_i32 s18, s2, s3
	s_lshl_b32 s2, s7, 3
	s_lshl_b32 s3, s8, 3
	s_add_co_i32 s2, s2, 0
	s_add_co_i32 s2, s2, s3
	s_delay_alu instid0(SALU_CYCLE_1)
	v_add3_u32 v18, s2, s23, v4
	s_lshl_b32 s23, s26, 3
	s_mov_b32 s26, s19
	s_branch .LBB8_15
.LBB8_14:                               ;   in Loop: Header=BB8_15 Depth=1
	s_or_b32 exec_lo, exec_lo, s27
	v_add_nc_u32_e32 v12, s25, v12
	s_delay_alu instid0(VALU_DEP_1) | instskip(SKIP_1) | instid1(SALU_CYCLE_1)
	v_cmp_ge_i32_e64 s1, v12, v13
	s_or_b32 s26, s1, s26
	s_and_not1_b32 exec_lo, exec_lo, s26
	s_cbranch_execz .LBB8_30
.LBB8_15:                               ; =>This Loop Header: Depth=1
                                        ;     Child Loop BB8_18 Depth 2
                                        ;       Child Loop BB8_21 Depth 3
                                        ;         Child Loop BB8_24 Depth 4
                                        ;           Child Loop BB8_26 Depth 5
                                        ;       Child Loop BB8_29 Depth 3
	s_and_saveexec_b32 s27, s0
	s_cbranch_execz .LBB8_14
; %bb.16:                               ;   in Loop: Header=BB8_15 Depth=1
	v_mul_lo_u32 v8, v12, s8
	s_mov_b32 s28, 0
	s_delay_alu instid0(VALU_DEP_1) | instskip(NEXT) | instid1(VALU_DEP_1)
	v_dual_mov_b32 v21, v15 :: v_dual_sub_nc_u32 v2, 0, v8
	v_dual_add_nc_u32 v9, s22, v8 :: v_dual_max_i32 v2, v8, v2
	s_delay_alu instid0(VALU_DEP_1) | instskip(NEXT) | instid1(VALU_DEP_2)
	v_sub_nc_u32_e32 v6, 0, v9
	v_mul_u64_e32 v[4:5], s[18:19], v[2:3]
	s_delay_alu instid0(VALU_DEP_1) | instskip(SKIP_1) | instid1(VALU_DEP_1)
	v_dual_ashrrev_i32 v8, 31, v8 :: v_dual_add_nc_u32 v10, 1, v5
	v_mul_lo_u32 v4, v5, s4
	v_dual_sub_nc_u32 v4, v2, v4 :: v_dual_max_i32 v2, v9, v6
	s_delay_alu instid0(VALU_DEP_1) | instskip(NEXT) | instid1(VALU_DEP_2)
	v_cmp_le_u32_e64 s1, s4, v4
	v_mul_u64_e32 v[6:7], s[18:19], v[2:3]
	s_delay_alu instid0(VALU_DEP_2) | instskip(SKIP_1) | instid1(VALU_DEP_1)
	v_cndmask_b32_e64 v5, v5, v10, s1
	v_subrev_nc_u32_e32 v10, s4, v4
	v_cndmask_b32_e64 v4, v4, v10, s1
	s_delay_alu instid0(VALU_DEP_4) | instskip(NEXT) | instid1(VALU_DEP_1)
	v_mul_lo_u32 v6, v7, s4
	v_dual_sub_nc_u32 v2, v2, v6 :: v_dual_bitop2_b32 v8, s6, v8 bitop3:0x14
	v_add_nc_u32_e32 v6, 1, v7
	s_delay_alu instid0(VALU_DEP_2) | instskip(SKIP_1) | instid1(VALU_DEP_1)
	v_subrev_nc_u32_e32 v11, s4, v2
	v_cmp_le_u32_e64 s2, s4, v2
	v_dual_cndmask_b32 v6, v7, v6, s2 :: v_dual_ashrrev_i32 v7, 31, v9
	s_delay_alu instid0(VALU_DEP_3) | instskip(SKIP_1) | instid1(VALU_DEP_3)
	v_dual_add_nc_u32 v9, 1, v5 :: v_dual_cndmask_b32 v2, v2, v11, s2
	v_cmp_le_u32_e64 s1, s4, v4
	v_dual_add_nc_u32 v10, 1, v6 :: v_dual_bitop2_b32 v7, s6, v7 bitop3:0x14
	s_delay_alu instid0(VALU_DEP_2) | instskip(NEXT) | instid1(VALU_DEP_4)
	v_cndmask_b32_e64 v4, v5, v9, s1
	v_cmp_le_u32_e64 s1, s4, v2
	s_delay_alu instid0(VALU_DEP_1) | instskip(NEXT) | instid1(VALU_DEP_1)
	v_dual_cndmask_b32 v2, v6, v10, s1 :: v_dual_bitop2_b32 v4, v4, v8 bitop3:0x14
	v_dual_sub_nc_u32 v19, v4, v8 :: v_dual_bitop2_b32 v5, v2, v7 bitop3:0x14
	v_mul_lo_u32 v2, v12, s7
	s_delay_alu instid0(VALU_DEP_2) | instskip(NEXT) | instid1(VALU_DEP_1)
	v_sub_nc_u32_e32 v20, v5, v7
	v_cmp_lt_i32_e64 s1, v19, v20
	s_branch .LBB8_18
.LBB8_17:                               ;   in Loop: Header=BB8_18 Depth=2
	s_or_b32 exec_lo, exec_lo, s3
	v_add_nc_u32_e32 v21, s24, v21
	s_delay_alu instid0(VALU_DEP_1) | instskip(SKIP_1) | instid1(SALU_CYCLE_1)
	v_cmp_ge_i32_e64 s2, v21, v17
	s_or_b32 s28, s2, s28
	s_and_not1_b32 exec_lo, exec_lo, s28
	s_cbranch_execz .LBB8_14
.LBB8_18:                               ;   Parent Loop BB8_15 Depth=1
                                        ; =>  This Loop Header: Depth=2
                                        ;       Child Loop BB8_21 Depth 3
                                        ;         Child Loop BB8_24 Depth 4
                                        ;           Child Loop BB8_26 Depth 5
                                        ;       Child Loop BB8_29 Depth 3
	s_delay_alu instid0(VALU_DEP_1)
	s_and_saveexec_b32 s29, s1
	s_cbranch_execz .LBB8_27
; %bb.19:                               ;   in Loop: Header=BB8_18 Depth=2
	v_dual_lshlrev_b32 v4, 2, v21 :: v_dual_mov_b32 v24, v19
	s_mov_b32 s30, 0
	s_delay_alu instid0(VALU_DEP_1)
	v_dual_add_nc_u32 v5, 0, v4 :: v_dual_add_nc_u32 v4, s9, v4
	ds_load_b32 v22, v5
	ds_load_b32 v23, v4
	s_wait_dscnt 0x0
	v_cmp_lt_i32_e64 s2, v22, v23
	s_branch .LBB8_21
.LBB8_20:                               ;   in Loop: Header=BB8_21 Depth=3
	s_or_b32 exec_lo, exec_lo, s31
	v_add_nc_u32_e32 v24, 1, v24
	s_delay_alu instid0(VALU_DEP_1) | instskip(SKIP_1) | instid1(SALU_CYCLE_1)
	v_cmp_ge_i32_e64 s3, v24, v20
	s_or_b32 s30, s3, s30
	s_and_not1_b32 exec_lo, exec_lo, s30
	s_cbranch_execz .LBB8_27
.LBB8_21:                               ;   Parent Loop BB8_15 Depth=1
                                        ;     Parent Loop BB8_18 Depth=2
                                        ; =>    This Loop Header: Depth=3
                                        ;         Child Loop BB8_24 Depth 4
                                        ;           Child Loop BB8_26 Depth 5
	s_delay_alu instid0(VALU_DEP_1)
	s_and_saveexec_b32 s31, s2
	s_cbranch_execz .LBB8_20
; %bb.22:                               ;   in Loop: Header=BB8_21 Depth=3
	v_mul_lo_u32 v4, v24, s14
	v_lshl_add_u32 v25, v24, 3, s21
	s_mov_b32 s33, 0
	s_delay_alu instid0(VALU_DEP_2) | instskip(NEXT) | instid1(VALU_DEP_1)
	v_dual_mov_b32 v26, v22 :: v_dual_ashrrev_i32 v5, 31, v4
	v_lshl_add_u64 v[4:5], v[4:5], 3, s[16:17]
	s_branch .LBB8_24
.LBB8_23:                               ;   in Loop: Header=BB8_24 Depth=4
	s_or_b32 exec_lo, exec_lo, s34
	v_add_nc_u32_e32 v26, 1, v26
	s_delay_alu instid0(VALU_DEP_1) | instskip(SKIP_1) | instid1(SALU_CYCLE_1)
	v_cmp_ge_i32_e64 s3, v26, v23
	s_or_b32 s33, s3, s33
	s_and_not1_b32 exec_lo, exec_lo, s33
	s_cbranch_execz .LBB8_20
.LBB8_24:                               ;   Parent Loop BB8_15 Depth=1
                                        ;     Parent Loop BB8_18 Depth=2
                                        ;       Parent Loop BB8_21 Depth=3
                                        ; =>      This Loop Header: Depth=4
                                        ;           Child Loop BB8_26 Depth 5
	s_and_saveexec_b32 s34, vcc_lo
	s_cbranch_execz .LBB8_23
; %bb.25:                               ;   in Loop: Header=BB8_24 Depth=4
	v_lshl_add_u32 v6, v26, 3, s20
	v_mov_b32_e32 v28, v14
	s_mov_b32 s35, 0
	ds_load_b64 v[6:7], v6
	ds_load_b64 v[8:9], v25
	v_dual_mov_b32 v10, v16 :: v_dual_mov_b32 v27, v18
	s_wait_dscnt 0x0
	v_mul_f64_e32 v[6:7], v[6:7], v[8:9]
	v_mul_lo_u32 v8, v26, s15
	s_delay_alu instid0(VALU_DEP_1) | instskip(NEXT) | instid1(VALU_DEP_1)
	v_ashrrev_i32_e32 v9, 31, v8
	v_lshl_add_u64 v[8:9], v[8:9], 3, v[4:5]
.LBB8_26:                               ;   Parent Loop BB8_15 Depth=1
                                        ;     Parent Loop BB8_18 Depth=2
                                        ;       Parent Loop BB8_21 Depth=3
                                        ;         Parent Loop BB8_24 Depth=4
                                        ; =>        This Inner Loop Header: Depth=5
	v_dual_ashrrev_i32 v11, 31, v10 :: v_dual_add_nc_u32 v28, s12, v28
	ds_load_b64 v[32:33], v27
	v_lshl_add_u64 v[30:31], v[10:11], 3, v[8:9]
	v_cmp_le_i32_e64 s3, s5, v28
	v_add_nc_u32_e32 v10, s13, v10
	global_load_b64 v[30:31], v[30:31], off
	s_or_b32 s35, s3, s35
	s_wait_loadcnt_dscnt 0x0
	v_fmac_f64_e32 v[32:33], v[6:7], v[30:31]
	ds_store_b64 v27, v[32:33]
	v_add_nc_u32_e32 v27, s23, v27
	s_wait_xcnt 0x0
	s_and_not1_b32 exec_lo, exec_lo, s35
	s_cbranch_execnz .LBB8_26
	s_branch .LBB8_23
.LBB8_27:                               ;   in Loop: Header=BB8_18 Depth=2
	s_or_b32 exec_lo, exec_lo, s29
	s_and_saveexec_b32 s3, vcc_lo
	s_cbranch_execz .LBB8_17
; %bb.28:                               ;   in Loop: Header=BB8_18 Depth=2
	s_delay_alu instid0(VALU_DEP_3) | instskip(SKIP_2) | instid1(VALU_DEP_2)
	v_dual_add_nc_u32 v4, v21, v2 :: v_dual_mov_b32 v8, v18
	s_mov_b32 s29, 0
	v_mov_b32_e32 v6, v14
	v_mul_lo_u32 v4, v4, s5
	s_delay_alu instid0(VALU_DEP_1) | instskip(NEXT) | instid1(VALU_DEP_1)
	v_ashrrev_i32_e32 v5, 31, v4
	v_lshl_add_u64 v[4:5], v[4:5], 3, s[10:11]
.LBB8_29:                               ;   Parent Loop BB8_15 Depth=1
                                        ;     Parent Loop BB8_18 Depth=2
                                        ; =>    This Inner Loop Header: Depth=3
	ds_load_b64 v[10:11], v8
	v_ashrrev_i32_e32 v7, 31, v6
	ds_store_b64 v8, v[0:1]
	v_add_nc_u32_e32 v8, s23, v8
	v_lshl_add_u64 v[22:23], v[6:7], 3, v[4:5]
	v_add_nc_u32_e32 v6, s12, v6
	s_delay_alu instid0(VALU_DEP_1)
	v_cmp_le_i32_e64 s2, s5, v6
	s_or_b32 s29, s2, s29
	s_wait_dscnt 0x1
	global_store_b64 v[22:23], v[10:11], off
	s_wait_xcnt 0x0
	s_and_not1_b32 exec_lo, exec_lo, s29
	s_cbranch_execnz .LBB8_29
	s_branch .LBB8_17
.LBB8_30:
	s_endpgm
	.section	.rodata,"a",@progbits
	.p2align	6, 0x0
	.amdhsa_kernel _ZN2at6native12_GLOBAL__N_131adaptive_average_gradinput_nhwcIidEEvPT0_PKS3_iiiiiiiiT_S7_S7_S7_
		.amdhsa_group_segment_fixed_size 0
		.amdhsa_private_segment_fixed_size 0
		.amdhsa_kernarg_size 320
		.amdhsa_user_sgpr_count 2
		.amdhsa_user_sgpr_dispatch_ptr 0
		.amdhsa_user_sgpr_queue_ptr 0
		.amdhsa_user_sgpr_kernarg_segment_ptr 1
		.amdhsa_user_sgpr_dispatch_id 0
		.amdhsa_user_sgpr_kernarg_preload_length 0
		.amdhsa_user_sgpr_kernarg_preload_offset 0
		.amdhsa_user_sgpr_private_segment_size 0
		.amdhsa_wavefront_size32 1
		.amdhsa_uses_dynamic_stack 0
		.amdhsa_enable_private_segment 0
		.amdhsa_system_sgpr_workgroup_id_x 1
		.amdhsa_system_sgpr_workgroup_id_y 1
		.amdhsa_system_sgpr_workgroup_id_z 1
		.amdhsa_system_sgpr_workgroup_info 0
		.amdhsa_system_vgpr_workitem_id 2
		.amdhsa_next_free_vgpr 34
		.amdhsa_next_free_sgpr 36
		.amdhsa_named_barrier_count 0
		.amdhsa_reserve_vcc 1
		.amdhsa_float_round_mode_32 0
		.amdhsa_float_round_mode_16_64 0
		.amdhsa_float_denorm_mode_32 3
		.amdhsa_float_denorm_mode_16_64 3
		.amdhsa_fp16_overflow 0
		.amdhsa_memory_ordered 1
		.amdhsa_forward_progress 1
		.amdhsa_inst_pref_size 27
		.amdhsa_round_robin_scheduling 0
		.amdhsa_exception_fp_ieee_invalid_op 0
		.amdhsa_exception_fp_denorm_src 0
		.amdhsa_exception_fp_ieee_div_zero 0
		.amdhsa_exception_fp_ieee_overflow 0
		.amdhsa_exception_fp_ieee_underflow 0
		.amdhsa_exception_fp_ieee_inexact 0
		.amdhsa_exception_int_div_zero 0
	.end_amdhsa_kernel
	.section	.text._ZN2at6native12_GLOBAL__N_131adaptive_average_gradinput_nhwcIidEEvPT0_PKS3_iiiiiiiiT_S7_S7_S7_,"axG",@progbits,_ZN2at6native12_GLOBAL__N_131adaptive_average_gradinput_nhwcIidEEvPT0_PKS3_iiiiiiiiT_S7_S7_S7_,comdat
.Lfunc_end8:
	.size	_ZN2at6native12_GLOBAL__N_131adaptive_average_gradinput_nhwcIidEEvPT0_PKS3_iiiiiiiiT_S7_S7_S7_, .Lfunc_end8-_ZN2at6native12_GLOBAL__N_131adaptive_average_gradinput_nhwcIidEEvPT0_PKS3_iiiiiiiiT_S7_S7_S7_
                                        ; -- End function
	.set _ZN2at6native12_GLOBAL__N_131adaptive_average_gradinput_nhwcIidEEvPT0_PKS3_iiiiiiiiT_S7_S7_S7_.num_vgpr, 34
	.set _ZN2at6native12_GLOBAL__N_131adaptive_average_gradinput_nhwcIidEEvPT0_PKS3_iiiiiiiiT_S7_S7_S7_.num_agpr, 0
	.set _ZN2at6native12_GLOBAL__N_131adaptive_average_gradinput_nhwcIidEEvPT0_PKS3_iiiiiiiiT_S7_S7_S7_.numbered_sgpr, 36
	.set _ZN2at6native12_GLOBAL__N_131adaptive_average_gradinput_nhwcIidEEvPT0_PKS3_iiiiiiiiT_S7_S7_S7_.num_named_barrier, 0
	.set _ZN2at6native12_GLOBAL__N_131adaptive_average_gradinput_nhwcIidEEvPT0_PKS3_iiiiiiiiT_S7_S7_S7_.private_seg_size, 0
	.set _ZN2at6native12_GLOBAL__N_131adaptive_average_gradinput_nhwcIidEEvPT0_PKS3_iiiiiiiiT_S7_S7_S7_.uses_vcc, 1
	.set _ZN2at6native12_GLOBAL__N_131adaptive_average_gradinput_nhwcIidEEvPT0_PKS3_iiiiiiiiT_S7_S7_S7_.uses_flat_scratch, 0
	.set _ZN2at6native12_GLOBAL__N_131adaptive_average_gradinput_nhwcIidEEvPT0_PKS3_iiiiiiiiT_S7_S7_S7_.has_dyn_sized_stack, 0
	.set _ZN2at6native12_GLOBAL__N_131adaptive_average_gradinput_nhwcIidEEvPT0_PKS3_iiiiiiiiT_S7_S7_S7_.has_recursion, 0
	.set _ZN2at6native12_GLOBAL__N_131adaptive_average_gradinput_nhwcIidEEvPT0_PKS3_iiiiiiiiT_S7_S7_S7_.has_indirect_call, 0
	.section	.AMDGPU.csdata,"",@progbits
; Kernel info:
; codeLenInByte = 3384
; TotalNumSgprs: 38
; NumVgprs: 34
; ScratchSize: 0
; MemoryBound: 0
; FloatMode: 240
; IeeeMode: 1
; LDSByteSize: 0 bytes/workgroup (compile time only)
; SGPRBlocks: 0
; VGPRBlocks: 2
; NumSGPRsForWavesPerEU: 38
; NumVGPRsForWavesPerEU: 34
; NamedBarCnt: 0
; Occupancy: 16
; WaveLimiterHint : 0
; COMPUTE_PGM_RSRC2:SCRATCH_EN: 0
; COMPUTE_PGM_RSRC2:USER_SGPR: 2
; COMPUTE_PGM_RSRC2:TRAP_HANDLER: 0
; COMPUTE_PGM_RSRC2:TGID_X_EN: 1
; COMPUTE_PGM_RSRC2:TGID_Y_EN: 1
; COMPUTE_PGM_RSRC2:TGID_Z_EN: 1
; COMPUTE_PGM_RSRC2:TIDIG_COMP_CNT: 2
	.section	.text._ZN2at6native12_GLOBAL__N_131adaptive_average_gradinput_nhwcIifEEvPT0_PKS3_iiiiiiiiT_S7_S7_S7_,"axG",@progbits,_ZN2at6native12_GLOBAL__N_131adaptive_average_gradinput_nhwcIifEEvPT0_PKS3_iiiiiiiiT_S7_S7_S7_,comdat
	.globl	_ZN2at6native12_GLOBAL__N_131adaptive_average_gradinput_nhwcIifEEvPT0_PKS3_iiiiiiiiT_S7_S7_S7_ ; -- Begin function _ZN2at6native12_GLOBAL__N_131adaptive_average_gradinput_nhwcIifEEvPT0_PKS3_iiiiiiiiT_S7_S7_S7_
	.p2align	8
	.type	_ZN2at6native12_GLOBAL__N_131adaptive_average_gradinput_nhwcIifEEvPT0_PKS3_iiiiiiiiT_S7_S7_S7_,@function
_ZN2at6native12_GLOBAL__N_131adaptive_average_gradinput_nhwcIifEEvPT0_PKS3_iiiiiiiiT_S7_S7_S7_: ; @_ZN2at6native12_GLOBAL__N_131adaptive_average_gradinput_nhwcIifEEvPT0_PKS3_iiiiiiiiT_S7_S7_S7_
; %bb.0:
	s_clause 0x1
	s_load_b128 s[16:19], s[0:1], 0x44
	s_load_b128 s[12:15], s[0:1], 0x30
	v_bfe_u32 v6, v0, 10, 10
	v_bfe_u32 v9, v0, 20, 10
	s_load_b256 s[4:11], s[0:1], 0x10
	v_and_b32_e32 v7, 0x3ff, v0
	s_mov_b32 s3, exec_lo
	s_wait_kmcnt 0x0
	s_lshr_b32 s24, s18, 16
	s_and_b32 s26, s18, 0xffff
	v_mad_u32_u24 v8, v9, s24, v6
	s_and_b32 s25, s19, 0xffff
	s_mul_i32 s27, s24, s26
	s_delay_alu instid0(SALU_CYCLE_1) | instskip(NEXT) | instid1(VALU_DEP_1)
	s_mul_i32 s27, s27, s25
	v_mad_u32 v0, v8, s26, v7
	s_delay_alu instid0(VALU_DEP_1)
	v_cmpx_gt_i32_e64 s7, v0
	s_cbranch_execz .LBB9_3
; %bb.1:
	s_abs_i32 s20, s7
	s_mul_i32 s28, s9, s24
	s_cvt_f32_u32 s2, s20
	s_sub_co_i32 s29, 0, s20
	v_lshl_add_u32 v4, v0, 2, 0
	v_dual_mov_b32 v3, 0 :: v_dual_mov_b32 v5, v0
	v_rcp_iflag_f32_e32 v1, s2
	s_add_co_i32 s2, s7, s9
	s_mov_b32 s19, 0
	s_mul_i32 s30, s28, s26
	s_ashr_i32 s21, s7, 31
	s_lshl_b32 s22, s27, 2
	s_lshl_b32 s23, s7, 2
	v_nop
	v_readfirstlane_b32 s18, v1
	v_mul_lo_u32 v1, s9, v0
	s_mov_b32 s28, s19
	s_mul_f32 s18, s18, 0x4f7ffffe
	s_delay_alu instid0(SALU_CYCLE_3) | instskip(NEXT) | instid1(VALU_DEP_1)
	s_cvt_u32_f32 s18, s18
	v_add3_u32 v10, s2, v1, -1
	s_delay_alu instid0(SALU_CYCLE_2) | instskip(NEXT) | instid1(SALU_CYCLE_1)
	s_mul_i32 s29, s29, s18
	s_mul_hi_u32 s2, s18, s29
	s_mul_i32 s29, s30, s25
	s_add_co_i32 s18, s18, s2
	s_mov_b32 s30, s19
.LBB9_2:                                ; =>This Inner Loop Header: Depth=1
	s_delay_alu instid0(SALU_CYCLE_1) | instskip(SKIP_1) | instid1(VALU_DEP_1)
	v_dual_add_nc_u32 v11, s30, v1 :: v_dual_add_nc_u32 v16, s30, v10
	s_add_co_i32 s30, s30, s29
	v_dual_add_nc_u32 v5, s27, v5 :: v_dual_sub_nc_u32 v2, 0, v11
	s_delay_alu instid0(VALU_DEP_1) | instskip(SKIP_1) | instid1(VALU_DEP_2)
	v_dual_sub_nc_u32 v14, 0, v16 :: v_dual_max_i32 v2, v11, v2
	v_ashrrev_i32_e32 v11, 31, v11
	v_mul_u64_e32 v[12:13], s[18:19], v[2:3]
	s_delay_alu instid0(VALU_DEP_2) | instskip(NEXT) | instid1(VALU_DEP_2)
	v_xor_b32_e32 v11, s21, v11
	v_mul_lo_u32 v12, v13, s20
	s_delay_alu instid0(VALU_DEP_1) | instskip(NEXT) | instid1(VALU_DEP_1)
	v_dual_sub_nc_u32 v12, v2, v12 :: v_dual_max_i32 v2, v16, v14
	v_cmp_le_u32_e32 vcc_lo, s20, v12
	s_delay_alu instid0(VALU_DEP_2) | instskip(SKIP_2) | instid1(VALU_DEP_2)
	v_mul_u64_e32 v[14:15], s[18:19], v[2:3]
	v_dual_ashrrev_i32 v14, 31, v16 :: v_dual_add_nc_u32 v16, 1, v13
	v_subrev_nc_u32_e32 v17, s20, v12
	v_dual_cndmask_b32 v13, v13, v16, vcc_lo :: v_dual_bitop2_b32 v14, s21, v14 bitop3:0x14
	s_delay_alu instid0(VALU_DEP_2) | instskip(NEXT) | instid1(VALU_DEP_2)
	v_cndmask_b32_e32 v12, v12, v17, vcc_lo
	v_add_nc_u32_e32 v16, 1, v13
	s_delay_alu instid0(VALU_DEP_2) | instskip(SKIP_1) | instid1(VALU_DEP_2)
	v_cmp_le_u32_e64 s2, s20, v12
	v_mul_lo_u32 v18, v15, s20
	v_dual_add_nc_u32 v17, 1, v15 :: v_dual_cndmask_b32 v13, v13, v16, s2
	s_delay_alu instid0(VALU_DEP_2) | instskip(NEXT) | instid1(VALU_DEP_1)
	v_sub_nc_u32_e32 v2, v2, v18
	v_cmp_le_u32_e32 vcc_lo, s20, v2
	s_delay_alu instid0(VALU_DEP_3) | instskip(SKIP_1) | instid1(VALU_DEP_1)
	v_cndmask_b32_e32 v15, v15, v17, vcc_lo
	v_subrev_nc_u32_e32 v18, s20, v2
	v_dual_add_nc_u32 v12, 1, v15 :: v_dual_cndmask_b32 v2, v2, v18, vcc_lo
	s_delay_alu instid0(VALU_DEP_1) | instskip(NEXT) | instid1(VALU_DEP_2)
	v_cmp_le_u32_e32 vcc_lo, s20, v2
	v_dual_cndmask_b32 v2, v15, v12, vcc_lo :: v_dual_bitop2_b32 v12, v13, v11 bitop3:0x14
	v_cmp_le_i32_e32 vcc_lo, s7, v5
	s_delay_alu instid0(VALU_DEP_2) | instskip(SKIP_2) | instid1(VALU_DEP_2)
	v_dual_sub_nc_u32 v11, v12, v11 :: v_dual_bitop2_b32 v2, v2, v14 bitop3:0x14
	v_add_nc_u32_e32 v12, s23, v4
	s_or_b32 s28, vcc_lo, s28
	v_sub_nc_u32_e32 v2, v2, v14
	ds_store_b32 v4, v11
	v_add_nc_u32_e32 v4, s22, v4
	ds_store_b32 v12, v2
	s_and_not1_b32 exec_lo, exec_lo, s28
	s_cbranch_execnz .LBB9_2
.LBB9_3:
	s_or_b32 exec_lo, exec_lo, s3
	s_load_b128 s[20:23], s[0:1], 0x0
	s_wait_xcnt 0x0
	s_cvt_f32_u32 s0, s27
	v_add_nc_u32_e32 v1, s25, v9
	s_mov_b32 s1, exec_lo
	s_delay_alu instid0(SALU_CYCLE_1) | instskip(NEXT) | instid1(VALU_DEP_1)
	v_rcp_iflag_f32_e32 v10, s0
	v_mad_u32_u24 v11, v1, s24, v6
	v_cmpx_gt_i32_e64 s8, v0
	s_cbranch_execz .LBB9_13
; %bb.4:
	s_delay_alu instid0(VALU_DEP_2) | instskip(NEXT) | instid1(TRANS32_DEP_1)
	v_mul_lo_u32 v1, v11, s26
	v_readfirstlane_b32 s0, v10
	s_sub_co_i32 s2, 0, s27
	s_mov_b32 s18, exec_lo
                                        ; implicit-def: $vgpr14
                                        ; implicit-def: $vgpr13
                                        ; implicit-def: $vgpr5
                                        ; implicit-def: $vgpr15
	s_mul_f32 s0, s0, 0x4f7ffffe
	s_delay_alu instid0(SALU_CYCLE_3) | instskip(SKIP_1) | instid1(SALU_CYCLE_2)
	s_cvt_u32_f32 s0, s0
	v_add_nc_u32_e32 v2, v7, v1
	s_mul_i32 s2, s2, s0
	s_delay_alu instid0(SALU_CYCLE_1) | instskip(NEXT) | instid1(VALU_DEP_1)
	s_mul_hi_u32 s2, s0, s2
	v_cmp_gt_i32_e32 vcc_lo, s8, v2
	v_max_i32_e32 v3, s8, v2
	s_add_co_i32 s0, s0, s2
                                        ; implicit-def: $sgpr2_sgpr3
	v_add_co_ci_u32_e64 v1, null, v7, v1, vcc_lo
	s_delay_alu instid0(VALU_DEP_1) | instskip(NEXT) | instid1(VALU_DEP_1)
	v_sub_nc_u32_e32 v1, v3, v1
	v_mul_hi_u32 v2, v1, s0
	s_delay_alu instid0(VALU_DEP_1) | instskip(NEXT) | instid1(VALU_DEP_1)
	v_mul_lo_u32 v3, v2, s27
	v_dual_sub_nc_u32 v1, v1, v3 :: v_dual_add_nc_u32 v3, 1, v2
	s_delay_alu instid0(VALU_DEP_1) | instskip(SKIP_1) | instid1(VALU_DEP_1)
	v_subrev_nc_u32_e32 v4, s27, v1
	v_cmp_le_u32_e64 s0, s27, v1
	v_dual_cndmask_b32 v2, v2, v3, s0 :: v_dual_cndmask_b32 v1, v1, v4, s0
                                        ; implicit-def: $vgpr4
	s_delay_alu instid0(VALU_DEP_1) | instskip(NEXT) | instid1(VALU_DEP_2)
	v_add_nc_u32_e32 v3, 1, v2
	v_cmp_le_u32_e64 s0, s27, v1
	s_delay_alu instid0(VALU_DEP_1) | instskip(SKIP_1) | instid1(VALU_DEP_1)
	v_cndmask_b32_e64 v1, v2, v3, s0
	s_mov_b32 s0, 0
	v_add_co_ci_u32_e64 v12, null, 1, v1, vcc_lo
                                        ; implicit-def: $vgpr1
	s_delay_alu instid0(VALU_DEP_1)
	v_cmpx_lt_u32_e32 1, v12
	s_xor_b32 s18, exec_lo, s18
	s_cbranch_execnz .LBB9_7
; %bb.5:
	s_or_saveexec_b32 s18, s18
	v_mov_b64_e32 v[2:3], s[2:3]
	s_xor_b32 exec_lo, exec_lo, s18
	s_cbranch_execnz .LBB9_10
.LBB9_6:
	s_or_b32 exec_lo, exec_lo, s18
	s_delay_alu instid0(SALU_CYCLE_1)
	s_and_b32 exec_lo, exec_lo, s0
	s_cbranch_execnz .LBB9_11
	s_branch .LBB9_13
.LBB9_7:
	s_abs_i32 s19, s8
	v_add_nc_u32_e32 v1, s27, v0
	s_cvt_f32_u32 s0, s19
	v_dual_mov_b32 v3, 0 :: v_dual_bitop2_b32 v13, -2, v12 bitop3:0x40
	s_lshl_b32 s35, s7, 3
	s_delay_alu instid0(SALU_CYCLE_1)
	v_rcp_iflag_f32_e32 v2, s0
	s_lshl_b32 s36, s9, 2
	s_sub_co_i32 s39, 0, s19
	s_add_co_i32 s2, s35, s36
	v_mov_b32_e32 v15, v13
	s_add_co_i32 s29, s8, -1
	s_lshl_b32 s33, s27, 1
	v_readfirstlane_b32 s0, v2
	v_lshlrev_b32_e32 v2, 2, v0
	v_mov_b64_e32 v[4:5], v[0:1]
	s_mov_b32 s3, 0
	s_mov_b32 s30, s6
	s_mul_f32 s0, s0, 0x4f7ffffe
	v_add3_u32 v14, 0, s2, v2
	s_mov_b32 s31, s6
	s_ashr_i32 s28, s8, 31
	s_cvt_u32_f32 s0, s0
	s_lshl_b32 s34, s27, 2
	s_lshl_b32 s37, s27, 3
	s_mov_b32 s38, s29
	s_mul_i32 s39, s39, s0
	s_mov_b32 s40, s3
	s_mul_hi_u32 s2, s0, s39
	s_mov_b32 s39, s33
	s_add_co_i32 s2, s0, s2
.LBB9_8:                                ; =>This Inner Loop Header: Depth=1
	v_mul_lo_u32 v1, v4, s30
	v_mul_lo_u32 v20, v5, s31
	v_dual_add_nc_u32 v15, -2, v15 :: v_dual_add_nc_u32 v5, s39, v5
	v_add_nc_u32_e32 v4, s33, v4
	s_delay_alu instid0(VALU_DEP_4) | instskip(SKIP_2) | instid1(VALU_DEP_2)
	v_add3_u32 v18, s29, s30, v1
	v_dual_ashrrev_i32 v19, 31, v1 :: v_dual_sub_nc_u32 v21, 0, v1
	v_dual_ashrrev_i32 v22, 31, v20 :: v_dual_sub_nc_u32 v23, 0, v20
	v_dual_sub_nc_u32 v2, 0, v18 :: v_dual_bitop2_b32 v26, s28, v19 bitop3:0x14
	s_delay_alu instid0(VALU_DEP_1) | instskip(NEXT) | instid1(VALU_DEP_1)
	v_max_i32_e32 v2, v18, v2
	v_mul_u64_e32 v[16:17], s[2:3], v[2:3]
	v_add3_u32 v16, s38, s31, v20
	v_ashrrev_i32_e32 v18, 31, v18
	s_delay_alu instid0(VALU_DEP_2) | instskip(NEXT) | instid1(VALU_DEP_2)
	v_dual_ashrrev_i32 v24, 31, v16 :: v_dual_bitop2_b32 v22, s28, v22 bitop3:0x14
	v_dual_sub_nc_u32 v25, 0, v16 :: v_dual_bitop2_b32 v27, s28, v18 bitop3:0x14
	v_mul_lo_u32 v18, v17, s19
	s_delay_alu instid0(VALU_DEP_1) | instskip(NEXT) | instid1(VALU_DEP_1)
	v_dual_add_nc_u32 v28, 1, v17 :: v_dual_sub_nc_u32 v29, v2, v18
	v_cmp_le_u32_e32 vcc_lo, s19, v29
	s_delay_alu instid0(VALU_DEP_4) | instskip(SKIP_1) | instid1(VALU_DEP_4)
	v_max_i32_e32 v2, v16, v25
	v_subrev_nc_u32_e32 v16, s19, v29
	v_cndmask_b32_e32 v17, v17, v28, vcc_lo
	s_delay_alu instid0(VALU_DEP_3) | instskip(NEXT) | instid1(VALU_DEP_3)
	v_mul_u64_e32 v[18:19], s[2:3], v[2:3]
	v_cndmask_b32_e32 v16, v29, v16, vcc_lo
	s_delay_alu instid0(VALU_DEP_3) | instskip(NEXT) | instid1(VALU_DEP_3)
	v_dual_add_nc_u32 v18, 1, v17 :: v_dual_bitop2_b32 v24, s28, v24 bitop3:0x14
	v_add_nc_u32_e32 v25, 1, v19
	s_delay_alu instid0(VALU_DEP_3) | instskip(NEXT) | instid1(VALU_DEP_3)
	v_cmp_le_u32_e32 vcc_lo, s19, v16
	v_cndmask_b32_e32 v16, v17, v18, vcc_lo
	s_delay_alu instid0(VALU_DEP_1) | instskip(NEXT) | instid1(VALU_DEP_1)
	v_xor_b32_e32 v16, v16, v27
	v_sub_nc_u32_e32 v18, v16, v27
	v_mul_lo_u32 v16, v19, s19
	s_delay_alu instid0(VALU_DEP_1) | instskip(NEXT) | instid1(VALU_DEP_1)
	v_dual_sub_nc_u32 v27, v2, v16 :: v_dual_max_i32 v2, v1, v21
	v_subrev_nc_u32_e32 v1, s19, v27
	s_delay_alu instid0(VALU_DEP_2) | instskip(SKIP_2) | instid1(VALU_DEP_1)
	v_mul_u64_e32 v[16:17], s[2:3], v[2:3]
	v_cmp_le_u32_e32 vcc_lo, s19, v27
	v_cndmask_b32_e32 v16, v19, v25, vcc_lo
	v_dual_cndmask_b32 v1, v27, v1, vcc_lo :: v_dual_add_nc_u32 v19, 1, v16
	s_delay_alu instid0(VALU_DEP_1) | instskip(NEXT) | instid1(VALU_DEP_2)
	v_cmp_le_u32_e32 vcc_lo, s19, v1
	v_dual_cndmask_b32 v1, v16, v19, vcc_lo :: v_dual_add_nc_u32 v19, 1, v17
	v_mul_lo_u32 v16, v17, s19
	s_delay_alu instid0(VALU_DEP_2) | instskip(NEXT) | instid1(VALU_DEP_1)
	v_xor_b32_e32 v1, v1, v24
	v_sub_nc_u32_e32 v1, v1, v24
	s_delay_alu instid0(VALU_DEP_3) | instskip(NEXT) | instid1(VALU_DEP_1)
	v_dual_sub_nc_u32 v21, v2, v16 :: v_dual_max_i32 v2, v20, v23
	v_cmp_le_u32_e32 vcc_lo, s19, v21
	v_subrev_nc_u32_e32 v20, s19, v21
	v_cndmask_b32_e32 v19, v17, v19, vcc_lo
	s_delay_alu instid0(VALU_DEP_4) | instskip(NEXT) | instid1(VALU_DEP_2)
	v_mul_u64_e32 v[16:17], s[2:3], v[2:3]
	v_dual_cndmask_b32 v16, v21, v20, vcc_lo :: v_dual_add_nc_u32 v20, 1, v19
	s_delay_alu instid0(VALU_DEP_1) | instskip(NEXT) | instid1(VALU_DEP_2)
	v_cmp_le_u32_e32 vcc_lo, s19, v16
	v_dual_cndmask_b32 v16, v19, v20 :: v_dual_add_nc_u32 v19, 1, v17
	s_delay_alu instid0(VALU_DEP_1) | instskip(NEXT) | instid1(VALU_DEP_1)
	v_xor_b32_e32 v16, v16, v26
	v_sub_nc_u32_e32 v16, v26, v16
	s_delay_alu instid0(VALU_DEP_1) | instskip(SKIP_1) | instid1(VALU_DEP_2)
	v_add_nc_u32_e32 v16, v18, v16
	v_mul_lo_u32 v18, v17, s19
	v_cvt_f32_i32_e32 v16, v16
	s_delay_alu instid0(VALU_DEP_1) | instskip(NEXT) | instid1(VALU_DEP_3)
	v_div_scale_f32 v20, null, v16, v16, 1.0
	v_sub_nc_u32_e32 v2, v2, v18
	v_div_scale_f32 v21, s0, 1.0, v16, 1.0
	s_delay_alu instid0(VALU_DEP_3) | instskip(NEXT) | instid1(VALU_DEP_2)
	v_rcp_f32_e32 v23, v20
	v_cmp_le_u32_e32 vcc_lo, s19, v2
	s_delay_alu instid0(TRANS32_DEP_1) | instskip(SKIP_1) | instid1(VALU_DEP_1)
	v_fma_f32 v18, -v20, v23, 1.0
	v_cndmask_b32_e32 v17, v17, v19, vcc_lo
	v_dual_fmac_f32 v23, v18, v23 :: v_dual_add_nc_u32 v18, 1, v17
	v_subrev_nc_u32_e32 v24, s19, v2
	s_delay_alu instid0(VALU_DEP_1) | instskip(NEXT) | instid1(VALU_DEP_1)
	v_dual_mul_f32 v19, v21, v23 :: v_dual_cndmask_b32 v2, v2, v24
	v_cmp_le_u32_e32 vcc_lo, s19, v2
	s_delay_alu instid0(VALU_DEP_2) | instskip(NEXT) | instid1(VALU_DEP_1)
	v_dual_cndmask_b32 v2, v17, v18, vcc_lo :: v_dual_fma_f32 v17, -v20, v19, v21
	v_dual_fmac_f32 v19, v17, v23 :: v_dual_bitop2_b32 v2, v2, v22 bitop3:0x14
	s_delay_alu instid0(VALU_DEP_1) | instskip(NEXT) | instid1(VALU_DEP_1)
	v_dual_sub_nc_u32 v2, v22, v2 :: v_dual_fma_f32 v17, -v20, v19, v21
	v_add_nc_u32_e32 v1, v1, v2
	s_delay_alu instid0(VALU_DEP_1) | instskip(NEXT) | instid1(VALU_DEP_1)
	v_cvt_f32_i32_e32 v1, v1
	v_div_scale_f32 v2, null, v1, v1, 1.0
	v_div_scale_f32 v22, vcc_lo, 1.0, v1, 1.0
	s_delay_alu instid0(VALU_DEP_2) | instskip(SKIP_1) | instid1(TRANS32_DEP_1)
	v_rcp_f32_e32 v18, v2
	v_nop
	v_fma_f32 v24, -v2, v18, 1.0
	s_delay_alu instid0(VALU_DEP_1) | instskip(NEXT) | instid1(VALU_DEP_1)
	v_fmac_f32_e32 v18, v24, v18
	v_mul_f32_e32 v24, v22, v18
	s_delay_alu instid0(VALU_DEP_1) | instskip(NEXT) | instid1(VALU_DEP_1)
	v_fma_f32 v25, -v2, v24, v22
	v_fmac_f32_e32 v24, v25, v18
	s_delay_alu instid0(VALU_DEP_1) | instskip(NEXT) | instid1(VALU_DEP_1)
	v_fma_f32 v2, -v2, v24, v22
	v_div_fmas_f32 v2, v2, v18, v24
	s_mov_b32 vcc_lo, s0
	v_add_nc_u32_e32 v18, s34, v14
	v_div_fmas_f32 v17, v17, v23, v19
	v_cmp_eq_u32_e32 vcc_lo, 0, v15
	v_div_fixup_f32 v1, v2, v1, 1.0
	s_delay_alu instid0(VALU_DEP_3)
	v_div_fixup_f32 v16, v17, v16, 1.0
	s_or_b32 s40, vcc_lo, s40
	ds_store_b32 v14, v16
	v_add_nc_u32_e32 v14, s37, v14
	ds_store_b32 v18, v1
	s_and_not1_b32 exec_lo, exec_lo, s40
	s_cbranch_execnz .LBB9_8
; %bb.9:
	s_or_b32 exec_lo, exec_lo, s40
	v_mad_u32 v14, v13, s27, v0
	v_cmp_ne_u32_e32 vcc_lo, v12, v13
	v_dual_mov_b32 v15, s34 :: v_dual_mov_b32 v4, s36
	v_dual_mov_b32 v5, s35 :: v_dual_mov_b32 v13, s19
	v_mov_b32_e32 v1, s28
	s_and_b32 s0, vcc_lo, exec_lo
	s_or_saveexec_b32 s18, s18
	v_mov_b64_e32 v[2:3], s[2:3]
	s_xor_b32 exec_lo, exec_lo, s18
	s_cbranch_execz .LBB9_6
.LBB9_10:
	s_abs_i32 s2, s8
	s_ashr_i32 s28, s8, 31
	s_cvt_f32_u32 s3, s2
	s_sub_co_i32 s33, 0, s2
	s_lshl_b32 s29, s7, 3
	s_lshl_b32 s30, s9, 2
	v_rcp_iflag_f32_e32 v1, s3
	s_mov_b32 s3, 0
	s_lshl_b32 s31, s27, 2
	v_dual_mov_b32 v5, s29 :: v_dual_mov_b32 v4, s30
	v_dual_mov_b32 v15, s31 :: v_dual_mov_b32 v14, v0
	s_delay_alu instid0(TRANS32_DEP_1) | instskip(SKIP_3) | instid1(SALU_CYCLE_3)
	v_readfirstlane_b32 s19, v1
	v_dual_mov_b32 v1, s28 :: v_dual_mov_b32 v13, s2
	s_or_b32 s0, s0, exec_lo
	s_mul_f32 s19, s19, 0x4f7ffffe
	s_cvt_u32_f32 s19, s19
	s_delay_alu instid0(SALU_CYCLE_3) | instskip(NEXT) | instid1(SALU_CYCLE_1)
	s_mul_i32 s33, s33, s19
	s_mul_hi_u32 s2, s19, s33
	s_delay_alu instid0(SALU_CYCLE_1) | instskip(NEXT) | instid1(SALU_CYCLE_1)
	s_add_co_i32 s2, s19, s2
	v_mov_b64_e32 v[2:3], s[2:3]
	s_or_b32 exec_lo, exec_lo, s18
	s_delay_alu instid0(SALU_CYCLE_1)
	s_and_b32 exec_lo, exec_lo, s0
	s_cbranch_execz .LBB9_13
.LBB9_11:
	v_mul_lo_u32 v12, v14, s6
	v_lshl_add_u32 v5, v14, 2, v5
	s_add_co_i32 s2, s8, s6
	s_mul_i32 s0, s6, s24
	s_mov_b32 s3, 0
	s_mul_i32 s0, s0, s26
	v_add3_u32 v16, v5, v4, 0
	v_mov_b32_e32 v5, 0
	s_mov_b32 s18, 0
	s_delay_alu instid0(VALU_DEP_4)
	v_add3_u32 v17, s2, v12, -1
	s_mul_i32 s2, s0, s25
.LBB9_12:                               ; =>This Inner Loop Header: Depth=1
	s_delay_alu instid0(VALU_DEP_1) | instskip(SKIP_2) | instid1(VALU_DEP_2)
	v_dual_add_nc_u32 v22, s18, v17 :: v_dual_add_nc_u32 v23, s18, v12
	s_add_co_i32 s18, s18, s2
	v_add_nc_u32_e32 v14, s27, v14
	v_dual_sub_nc_u32 v4, 0, v22 :: v_dual_sub_nc_u32 v20, 0, v23
	s_delay_alu instid0(VALU_DEP_1) | instskip(NEXT) | instid1(VALU_DEP_1)
	v_max_i32_e32 v4, v22, v4
	v_mul_u64_e32 v[18:19], v[4:5], v[2:3]
	s_delay_alu instid0(VALU_DEP_1) | instskip(NEXT) | instid1(VALU_DEP_1)
	v_mul_lo_u32 v18, v19, v13
	v_dual_add_nc_u32 v24, 1, v19 :: v_dual_sub_nc_u32 v18, v4, v18
	v_max_i32_e32 v4, v23, v20
	s_delay_alu instid0(VALU_DEP_2) | instskip(NEXT) | instid1(VALU_DEP_2)
	v_cmp_ge_u32_e32 vcc_lo, v18, v13
	v_mul_u64_e32 v[20:21], v[4:5], v[2:3]
	v_dual_ashrrev_i32 v20, 31, v22 :: v_dual_ashrrev_i32 v22, 31, v23
	s_delay_alu instid0(VALU_DEP_1) | instskip(NEXT) | instid1(VALU_DEP_2)
	v_dual_cndmask_b32 v19, v19, v24, vcc_lo :: v_dual_bitop2_b32 v20, v20, v1 bitop3:0x14
	v_xor_b32_e32 v22, v22, v1
	s_delay_alu instid0(VALU_DEP_4) | instskip(NEXT) | instid1(VALU_DEP_1)
	v_mul_lo_u32 v23, v21, v13
	v_dual_add_nc_u32 v24, 1, v21 :: v_dual_sub_nc_u32 v4, v4, v23
	v_sub_nc_u32_e32 v23, v18, v13
	s_delay_alu instid0(VALU_DEP_2) | instskip(NEXT) | instid1(VALU_DEP_1)
	v_cmp_ge_u32_e64 s0, v4, v13
	v_dual_sub_nc_u32 v25, v4, v13 :: v_dual_cndmask_b32 v21, v21, v24, s0
	s_delay_alu instid0(VALU_DEP_1) | instskip(NEXT) | instid1(VALU_DEP_2)
	v_dual_cndmask_b32 v18, v18, v23, vcc_lo :: v_dual_cndmask_b32 v4, v4, v25, s0
	v_dual_add_nc_u32 v23, 1, v19 :: v_dual_add_nc_u32 v24, 1, v21
	s_delay_alu instid0(VALU_DEP_2) | instskip(NEXT) | instid1(VALU_DEP_2)
	v_cmp_ge_u32_e32 vcc_lo, v18, v13
	v_cndmask_b32_e32 v18, v19, v23, vcc_lo
	s_delay_alu instid0(VALU_DEP_4) | instskip(NEXT) | instid1(VALU_DEP_4)
	v_cmp_ge_u32_e32 vcc_lo, v4, v13
	v_cndmask_b32_e32 v4, v21, v24, vcc_lo
	s_delay_alu instid0(VALU_DEP_3) | instskip(NEXT) | instid1(VALU_DEP_1)
	v_xor_b32_e32 v18, v18, v20
	v_dual_sub_nc_u32 v18, v18, v20 :: v_dual_bitop2_b32 v4, v4, v22 bitop3:0x14
	s_delay_alu instid0(VALU_DEP_1) | instskip(NEXT) | instid1(VALU_DEP_1)
	v_sub_nc_u32_e32 v4, v22, v4
	v_add_nc_u32_e32 v4, v18, v4
	s_delay_alu instid0(VALU_DEP_1) | instskip(NEXT) | instid1(VALU_DEP_1)
	v_cvt_f32_i32_e32 v4, v4
	v_div_scale_f32 v18, null, v4, v4, 1.0
	v_div_scale_f32 v21, vcc_lo, 1.0, v4, 1.0
	s_delay_alu instid0(VALU_DEP_2) | instskip(SKIP_1) | instid1(TRANS32_DEP_1)
	v_rcp_f32_e32 v19, v18
	v_nop
	v_fma_f32 v20, -v18, v19, 1.0
	s_delay_alu instid0(VALU_DEP_1) | instskip(NEXT) | instid1(VALU_DEP_1)
	v_fmac_f32_e32 v19, v20, v19
	v_mul_f32_e32 v20, v21, v19
	s_delay_alu instid0(VALU_DEP_1) | instskip(NEXT) | instid1(VALU_DEP_1)
	v_fma_f32 v22, -v18, v20, v21
	v_fmac_f32_e32 v20, v22, v19
	s_delay_alu instid0(VALU_DEP_1) | instskip(NEXT) | instid1(VALU_DEP_1)
	v_fma_f32 v18, -v18, v20, v21
	v_div_fmas_f32 v18, v18, v19, v20
	v_cmp_le_i32_e32 vcc_lo, s8, v14
	s_delay_alu instid0(VALU_DEP_2)
	v_div_fixup_f32 v4, v18, v4, 1.0
	s_or_b32 s3, vcc_lo, s3
	ds_store_b32 v16, v4
	v_add_nc_u32_e32 v16, v16, v15
	s_and_not1_b32 exec_lo, exec_lo, s3
	s_cbranch_execnz .LBB9_12
.LBB9_13:
	s_or_b32 exec_lo, exec_lo, s1
	s_delay_alu instid0(SALU_CYCLE_1)
	s_mov_b32 s1, exec_lo
	v_cmpx_gt_i32_e64 s9, v0
	s_cbranch_execz .LBB9_23
; %bb.14:
	v_mul_lo_u32 v1, v11, s26
	v_readfirstlane_b32 s0, v10
	s_sub_co_i32 s2, 0, s27
	s_mov_b32 s18, exec_lo
                                        ; implicit-def: $vgpr12
                                        ; implicit-def: $vgpr11
                                        ; implicit-def: $vgpr13
	s_mul_f32 s0, s0, 0x4f7ffffe
	s_delay_alu instid0(SALU_CYCLE_3) | instskip(SKIP_1) | instid1(SALU_CYCLE_2)
	s_cvt_u32_f32 s0, s0
	v_add_nc_u32_e32 v2, v7, v1
	s_mul_i32 s2, s2, s0
	s_delay_alu instid0(SALU_CYCLE_1) | instskip(NEXT) | instid1(VALU_DEP_1)
	s_mul_hi_u32 s2, s0, s2
	v_cmp_gt_i32_e32 vcc_lo, s9, v2
	v_max_i32_e32 v3, s9, v2
	s_add_co_i32 s0, s0, s2
                                        ; implicit-def: $sgpr2_sgpr3
	v_add_co_ci_u32_e64 v1, null, v7, v1, vcc_lo
	s_delay_alu instid0(VALU_DEP_1) | instskip(NEXT) | instid1(VALU_DEP_1)
	v_sub_nc_u32_e32 v1, v3, v1
	v_mul_hi_u32 v2, v1, s0
	s_delay_alu instid0(VALU_DEP_1) | instskip(NEXT) | instid1(VALU_DEP_1)
	v_mul_lo_u32 v3, v2, s27
	v_dual_sub_nc_u32 v1, v1, v3 :: v_dual_add_nc_u32 v3, 1, v2
	s_delay_alu instid0(VALU_DEP_1) | instskip(SKIP_1) | instid1(VALU_DEP_1)
	v_subrev_nc_u32_e32 v4, s27, v1
	v_cmp_le_u32_e64 s0, s27, v1
	v_dual_cndmask_b32 v2, v2, v3, s0 :: v_dual_cndmask_b32 v1, v1, v4, s0
                                        ; implicit-def: $vgpr4
	s_delay_alu instid0(VALU_DEP_1) | instskip(NEXT) | instid1(VALU_DEP_2)
	v_add_nc_u32_e32 v3, 1, v2
	v_cmp_le_u32_e64 s0, s27, v1
	s_delay_alu instid0(VALU_DEP_1) | instskip(SKIP_1) | instid1(VALU_DEP_1)
	v_cndmask_b32_e64 v1, v2, v3, s0
	s_mov_b32 s0, 0
	v_add_co_ci_u32_e64 v10, null, 1, v1, vcc_lo
                                        ; implicit-def: $vgpr1
	s_delay_alu instid0(VALU_DEP_1)
	v_cmpx_lt_u32_e32 1, v10
	s_xor_b32 s18, exec_lo, s18
	s_cbranch_execnz .LBB9_17
; %bb.15:
	s_or_saveexec_b32 s18, s18
	v_mov_b64_e32 v[2:3], s[2:3]
	s_xor_b32 exec_lo, exec_lo, s18
	s_cbranch_execnz .LBB9_20
.LBB9_16:
	s_or_b32 exec_lo, exec_lo, s18
	s_delay_alu instid0(SALU_CYCLE_1)
	s_and_b32 exec_lo, exec_lo, s0
	s_cbranch_execnz .LBB9_21
	s_branch .LBB9_23
.LBB9_17:
	s_abs_i32 s19, s9
	v_dual_add_nc_u32 v1, s27, v0 :: v_dual_bitop2_b32 v11, -2, v10 bitop3:0x40
	s_cvt_f32_u32 s0, s19
	s_sub_co_i32 s2, 0, s19
	s_lshl_b32 s35, s7, 3
	s_delay_alu instid0(VALU_DEP_1)
	v_mov_b32_e32 v13, v11
	v_rcp_iflag_f32_e32 v2, s0
	v_mov_b64_e32 v[4:5], v[0:1]
	s_add_co_i32 s29, s9, -1
	s_lshl_b32 s33, s27, 1
	s_mov_b32 s3, 0
	s_mov_b32 s30, s7
	v_mov_b32_e32 v3, 0
	v_readfirstlane_b32 s0, v2
	v_lshlrev_b32_e32 v2, 2, v0
	s_mov_b32 s31, s7
	s_ashr_i32 s28, s9, 31
	s_lshl_b32 s34, s27, 2
	s_mul_f32 s0, s0, 0x4f7ffffe
	v_add3_u32 v12, 0, s35, v2
	s_lshl_b32 s36, s27, 3
	s_mov_b32 s37, s29
	s_cvt_u32_f32 s0, s0
	s_mov_b32 s38, s33
	s_mov_b32 s39, s3
	s_delay_alu instid0(SALU_CYCLE_1) | instskip(NEXT) | instid1(SALU_CYCLE_1)
	s_mul_i32 s2, s2, s0
	s_mul_hi_u32 s2, s0, s2
	s_delay_alu instid0(SALU_CYCLE_1)
	s_add_co_i32 s2, s0, s2
.LBB9_18:                               ; =>This Inner Loop Header: Depth=1
	v_mul_lo_u32 v1, v4, s30
	v_mul_lo_u32 v18, v5, s31
	v_dual_add_nc_u32 v5, s38, v5 :: v_dual_add_nc_u32 v4, s33, v4
	v_add_nc_u32_e32 v13, -2, v13
	s_delay_alu instid0(VALU_DEP_4) | instskip(SKIP_2) | instid1(VALU_DEP_2)
	v_add3_u32 v16, s29, s30, v1
	v_dual_ashrrev_i32 v17, 31, v1 :: v_dual_sub_nc_u32 v19, 0, v1
	v_dual_ashrrev_i32 v20, 31, v18 :: v_dual_sub_nc_u32 v21, 0, v18
	v_dual_sub_nc_u32 v2, 0, v16 :: v_dual_bitop2_b32 v24, s28, v17 bitop3:0x14
	s_delay_alu instid0(VALU_DEP_1) | instskip(NEXT) | instid1(VALU_DEP_1)
	v_max_i32_e32 v2, v16, v2
	v_mul_u64_e32 v[14:15], s[2:3], v[2:3]
	v_add3_u32 v14, s37, s31, v18
	v_ashrrev_i32_e32 v16, 31, v16
	s_delay_alu instid0(VALU_DEP_2) | instskip(NEXT) | instid1(VALU_DEP_2)
	v_dual_ashrrev_i32 v22, 31, v14 :: v_dual_bitop2_b32 v20, s28, v20 bitop3:0x14
	v_dual_sub_nc_u32 v23, 0, v14 :: v_dual_bitop2_b32 v25, s28, v16 bitop3:0x14
	v_mul_lo_u32 v16, v15, s19
	s_delay_alu instid0(VALU_DEP_1) | instskip(NEXT) | instid1(VALU_DEP_1)
	v_dual_add_nc_u32 v26, 1, v15 :: v_dual_sub_nc_u32 v27, v2, v16
	v_cmp_le_u32_e32 vcc_lo, s19, v27
	s_delay_alu instid0(VALU_DEP_4) | instskip(SKIP_1) | instid1(VALU_DEP_4)
	v_max_i32_e32 v2, v14, v23
	v_subrev_nc_u32_e32 v14, s19, v27
	v_cndmask_b32_e32 v15, v15, v26, vcc_lo
	s_delay_alu instid0(VALU_DEP_3) | instskip(NEXT) | instid1(VALU_DEP_3)
	v_mul_u64_e32 v[16:17], s[2:3], v[2:3]
	v_cndmask_b32_e32 v14, v27, v14, vcc_lo
	s_delay_alu instid0(VALU_DEP_3) | instskip(NEXT) | instid1(VALU_DEP_3)
	v_dual_add_nc_u32 v16, 1, v15 :: v_dual_bitop2_b32 v22, s28, v22 bitop3:0x14
	v_add_nc_u32_e32 v23, 1, v17
	s_delay_alu instid0(VALU_DEP_3) | instskip(NEXT) | instid1(VALU_DEP_3)
	v_cmp_le_u32_e32 vcc_lo, s19, v14
	v_cndmask_b32_e32 v14, v15, v16, vcc_lo
	s_delay_alu instid0(VALU_DEP_1) | instskip(NEXT) | instid1(VALU_DEP_1)
	v_xor_b32_e32 v14, v14, v25
	v_sub_nc_u32_e32 v16, v14, v25
	v_mul_lo_u32 v14, v17, s19
	s_delay_alu instid0(VALU_DEP_1) | instskip(NEXT) | instid1(VALU_DEP_1)
	v_dual_sub_nc_u32 v25, v2, v14 :: v_dual_max_i32 v2, v1, v19
	v_cmp_le_u32_e32 vcc_lo, s19, v25
	s_delay_alu instid0(VALU_DEP_2) | instskip(SKIP_1) | instid1(VALU_DEP_1)
	v_mul_u64_e32 v[14:15], s[2:3], v[2:3]
	v_cndmask_b32_e32 v14, v17, v23, vcc_lo
	v_add_nc_u32_e32 v17, 1, v14
	v_subrev_nc_u32_e32 v1, s19, v25
	s_delay_alu instid0(VALU_DEP_1) | instskip(NEXT) | instid1(VALU_DEP_1)
	v_cndmask_b32_e32 v1, v25, v1, vcc_lo
	v_cmp_le_u32_e32 vcc_lo, s19, v1
	s_delay_alu instid0(VALU_DEP_4) | instskip(SKIP_1) | instid1(VALU_DEP_1)
	v_cndmask_b32_e32 v1, v14, v17, vcc_lo
	v_mul_lo_u32 v14, v15, s19
	v_dual_add_nc_u32 v17, 1, v15 :: v_dual_sub_nc_u32 v19, v2, v14
	s_delay_alu instid0(VALU_DEP_1) | instskip(SKIP_2) | instid1(VALU_DEP_4)
	v_cmp_le_u32_e32 vcc_lo, s19, v19
	v_max_i32_e32 v2, v18, v21
	v_subrev_nc_u32_e32 v18, s19, v19
	v_cndmask_b32_e32 v17, v15, v17, vcc_lo
	s_delay_alu instid0(VALU_DEP_3) | instskip(NEXT) | instid1(VALU_DEP_3)
	v_mul_u64_e32 v[14:15], s[2:3], v[2:3]
	v_cndmask_b32_e32 v14, v19, v18, vcc_lo
	s_delay_alu instid0(VALU_DEP_3) | instskip(NEXT) | instid1(VALU_DEP_2)
	v_dual_add_nc_u32 v18, 1, v17 :: v_dual_bitop2_b32 v1, v1, v22 bitop3:0x14
	v_cmp_le_u32_e32 vcc_lo, s19, v14
	s_delay_alu instid0(VALU_DEP_2) | instskip(NEXT) | instid1(VALU_DEP_3)
	v_sub_nc_u32_e32 v1, v1, v22
	v_dual_cndmask_b32 v14, v17, v18 :: v_dual_add_nc_u32 v17, 1, v15
	s_delay_alu instid0(VALU_DEP_1) | instskip(NEXT) | instid1(VALU_DEP_1)
	v_xor_b32_e32 v14, v14, v24
	v_sub_nc_u32_e32 v14, v24, v14
	s_delay_alu instid0(VALU_DEP_1) | instskip(SKIP_1) | instid1(VALU_DEP_1)
	v_add_nc_u32_e32 v14, v16, v14
	v_mul_lo_u32 v16, v15, s19
	v_sub_nc_u32_e32 v2, v2, v16
	s_delay_alu instid0(VALU_DEP_3) | instskip(NEXT) | instid1(VALU_DEP_2)
	v_cvt_f32_i32_e32 v14, v14
	v_subrev_nc_u32_e32 v22, s19, v2
	s_delay_alu instid0(VALU_DEP_2) | instskip(SKIP_2) | instid1(VALU_DEP_3)
	v_div_scale_f32 v18, null, v14, v14, 1.0
	v_cmp_le_u32_e32 vcc_lo, s19, v2
	v_div_scale_f32 v19, s0, 1.0, v14, 1.0
	v_rcp_f32_e32 v21, v18
	v_dual_cndmask_b32 v15, v15, v17 :: v_dual_cndmask_b32 v2, v2, v22
	s_delay_alu instid0(TRANS32_DEP_1) | instskip(NEXT) | instid1(VALU_DEP_2)
	v_fma_f32 v16, -v18, v21, 1.0
	v_cmp_le_u32_e32 vcc_lo, s19, v2
	s_delay_alu instid0(VALU_DEP_2) | instskip(NEXT) | instid1(VALU_DEP_1)
	v_dual_fmac_f32 v21, v16, v21 :: v_dual_add_nc_u32 v16, 1, v15
	v_mul_f32_e32 v17, v19, v21
	s_delay_alu instid0(VALU_DEP_1) | instskip(NEXT) | instid1(VALU_DEP_1)
	v_dual_cndmask_b32 v2, v15, v16, vcc_lo :: v_dual_fma_f32 v15, -v18, v17, v19
	v_dual_fmac_f32 v17, v15, v21 :: v_dual_bitop2_b32 v2, v2, v20 bitop3:0x14
	s_delay_alu instid0(VALU_DEP_1) | instskip(NEXT) | instid1(VALU_DEP_1)
	v_dual_sub_nc_u32 v2, v20, v2 :: v_dual_fma_f32 v15, -v18, v17, v19
	v_add_nc_u32_e32 v1, v1, v2
	s_delay_alu instid0(VALU_DEP_1) | instskip(NEXT) | instid1(VALU_DEP_1)
	v_cvt_f32_i32_e32 v1, v1
	v_div_scale_f32 v2, null, v1, v1, 1.0
	v_div_scale_f32 v20, vcc_lo, 1.0, v1, 1.0
	s_delay_alu instid0(VALU_DEP_2) | instskip(SKIP_1) | instid1(TRANS32_DEP_1)
	v_rcp_f32_e32 v16, v2
	v_nop
	v_fma_f32 v22, -v2, v16, 1.0
	s_delay_alu instid0(VALU_DEP_1) | instskip(NEXT) | instid1(VALU_DEP_1)
	v_fmac_f32_e32 v16, v22, v16
	v_mul_f32_e32 v22, v20, v16
	s_delay_alu instid0(VALU_DEP_1) | instskip(NEXT) | instid1(VALU_DEP_1)
	v_fma_f32 v23, -v2, v22, v20
	v_fmac_f32_e32 v22, v23, v16
	s_delay_alu instid0(VALU_DEP_1) | instskip(NEXT) | instid1(VALU_DEP_1)
	v_fma_f32 v2, -v2, v22, v20
	v_div_fmas_f32 v2, v2, v16, v22
	s_mov_b32 vcc_lo, s0
	v_add_nc_u32_e32 v16, s34, v12
	v_div_fmas_f32 v15, v15, v21, v17
	v_cmp_eq_u32_e32 vcc_lo, 0, v13
	v_div_fixup_f32 v1, v2, v1, 1.0
	s_delay_alu instid0(VALU_DEP_3)
	v_div_fixup_f32 v14, v15, v14, 1.0
	s_or_b32 s39, vcc_lo, s39
	ds_store_b32 v12, v14
	v_add_nc_u32_e32 v12, s36, v12
	ds_store_b32 v16, v1
	s_and_not1_b32 exec_lo, exec_lo, s39
	s_cbranch_execnz .LBB9_18
; %bb.19:
	s_or_b32 exec_lo, exec_lo, s39
	v_mad_u32 v12, v11, s27, v0
	v_cmp_ne_u32_e32 vcc_lo, v10, v11
	v_dual_mov_b32 v13, s34 :: v_dual_mov_b32 v4, s35
	v_dual_mov_b32 v11, s19 :: v_dual_mov_b32 v1, s28
	s_and_b32 s0, vcc_lo, exec_lo
	s_or_saveexec_b32 s18, s18
	v_mov_b64_e32 v[2:3], s[2:3]
	s_xor_b32 exec_lo, exec_lo, s18
	s_cbranch_execz .LBB9_16
.LBB9_20:
	s_abs_i32 s2, s9
	s_ashr_i32 s28, s9, 31
	s_cvt_f32_u32 s3, s2
	s_sub_co_i32 s31, 0, s2
	s_lshl_b32 s29, s7, 3
	s_lshl_b32 s30, s27, 2
	v_rcp_iflag_f32_e32 v1, s3
	v_dual_mov_b32 v4, s29 :: v_dual_mov_b32 v13, s30
	v_mov_b32_e32 v12, v0
	s_or_b32 s0, s0, exec_lo
	v_mov_b32_e32 v11, s2
	s_delay_alu instid0(TRANS32_DEP_1) | instskip(SKIP_3) | instid1(SALU_CYCLE_2)
	v_readfirstlane_b32 s3, v1
	v_mov_b32_e32 v1, s28
	s_mul_f32 s19, s3, 0x4f7ffffe
	s_mov_b32 s3, 0
	s_cvt_u32_f32 s19, s19
	s_delay_alu instid0(SALU_CYCLE_3) | instskip(NEXT) | instid1(SALU_CYCLE_1)
	s_mul_i32 s31, s31, s19
	s_mul_hi_u32 s2, s19, s31
	s_delay_alu instid0(SALU_CYCLE_1) | instskip(NEXT) | instid1(SALU_CYCLE_1)
	s_add_co_i32 s2, s19, s2
	v_mov_b64_e32 v[2:3], s[2:3]
	s_or_b32 exec_lo, exec_lo, s18
	s_delay_alu instid0(SALU_CYCLE_1)
	s_and_b32 exec_lo, exec_lo, s0
	s_cbranch_execz .LBB9_23
.LBB9_21:
	v_mul_lo_u32 v10, v12, s7
	v_lshlrev_b32_e32 v5, 2, v12
	s_add_co_i32 s2, s9, s7
	s_mul_i32 s0, s7, s24
	s_mov_b32 s3, 0
	s_mul_i32 s0, s0, s26
	v_add3_u32 v14, v4, v5, 0
	v_mov_b32_e32 v5, 0
	s_mov_b32 s18, 0
	s_delay_alu instid0(VALU_DEP_4)
	v_add3_u32 v15, s2, v10, -1
	s_mul_i32 s2, s0, s25
.LBB9_22:                               ; =>This Inner Loop Header: Depth=1
	s_delay_alu instid0(VALU_DEP_1) | instskip(SKIP_2) | instid1(VALU_DEP_2)
	v_dual_add_nc_u32 v20, s18, v15 :: v_dual_add_nc_u32 v21, s18, v10
	s_add_co_i32 s18, s18, s2
	v_add_nc_u32_e32 v12, s27, v12
	v_dual_sub_nc_u32 v4, 0, v20 :: v_dual_sub_nc_u32 v18, 0, v21
	s_delay_alu instid0(VALU_DEP_1) | instskip(NEXT) | instid1(VALU_DEP_1)
	v_max_i32_e32 v4, v20, v4
	v_mul_u64_e32 v[16:17], v[4:5], v[2:3]
	s_delay_alu instid0(VALU_DEP_1) | instskip(NEXT) | instid1(VALU_DEP_1)
	v_mul_lo_u32 v16, v17, v11
	v_dual_sub_nc_u32 v16, v4, v16 :: v_dual_max_i32 v4, v21, v18
	v_add_nc_u32_e32 v22, 1, v17
	s_delay_alu instid0(VALU_DEP_2) | instskip(NEXT) | instid1(VALU_DEP_3)
	v_cmp_ge_u32_e32 vcc_lo, v16, v11
	v_mul_u64_e32 v[18:19], v[4:5], v[2:3]
	v_dual_ashrrev_i32 v18, 31, v20 :: v_dual_ashrrev_i32 v20, 31, v21
	s_delay_alu instid0(VALU_DEP_1) | instskip(NEXT) | instid1(VALU_DEP_3)
	v_xor_b32_e32 v20, v20, v1
	v_mul_lo_u32 v21, v19, v11
	s_delay_alu instid0(VALU_DEP_1) | instskip(NEXT) | instid1(VALU_DEP_4)
	v_sub_nc_u32_e32 v4, v4, v21
	v_dual_sub_nc_u32 v21, v16, v11 :: v_dual_bitop2_b32 v18, v18, v1 bitop3:0x14
	v_dual_cndmask_b32 v17, v17, v22 :: v_dual_add_nc_u32 v22, 1, v19
	s_delay_alu instid0(VALU_DEP_3) | instskip(NEXT) | instid1(VALU_DEP_3)
	v_cmp_ge_u32_e64 s0, v4, v11
	v_cndmask_b32_e32 v16, v16, v21, vcc_lo
	s_delay_alu instid0(VALU_DEP_2) | instskip(SKIP_1) | instid1(VALU_DEP_3)
	v_dual_add_nc_u32 v21, 1, v17 :: v_dual_cndmask_b32 v19, v19, v22, s0
	v_sub_nc_u32_e32 v23, v4, v11
	v_cmp_ge_u32_e32 vcc_lo, v16, v11
	s_delay_alu instid0(VALU_DEP_2) | instskip(NEXT) | instid1(VALU_DEP_4)
	v_dual_cndmask_b32 v4, v4, v23, s0 :: v_dual_cndmask_b32 v16, v17, v21, vcc_lo
	v_add_nc_u32_e32 v22, 1, v19
	s_delay_alu instid0(VALU_DEP_2) | instskip(NEXT) | instid1(VALU_DEP_3)
	v_cmp_ge_u32_e32 vcc_lo, v4, v11
	v_xor_b32_e32 v16, v16, v18
	s_delay_alu instid0(VALU_DEP_3) | instskip(NEXT) | instid1(VALU_DEP_2)
	v_cndmask_b32_e32 v4, v19, v22, vcc_lo
	v_sub_nc_u32_e32 v16, v16, v18
	s_delay_alu instid0(VALU_DEP_2) | instskip(NEXT) | instid1(VALU_DEP_1)
	v_xor_b32_e32 v4, v4, v20
	v_sub_nc_u32_e32 v4, v20, v4
	s_delay_alu instid0(VALU_DEP_1) | instskip(NEXT) | instid1(VALU_DEP_1)
	v_add_nc_u32_e32 v4, v16, v4
	v_cvt_f32_i32_e32 v4, v4
	s_delay_alu instid0(VALU_DEP_1) | instskip(SKIP_1) | instid1(VALU_DEP_2)
	v_div_scale_f32 v16, null, v4, v4, 1.0
	v_div_scale_f32 v19, vcc_lo, 1.0, v4, 1.0
	v_rcp_f32_e32 v17, v16
	v_nop
	s_delay_alu instid0(TRANS32_DEP_1) | instskip(NEXT) | instid1(VALU_DEP_1)
	v_fma_f32 v18, -v16, v17, 1.0
	v_fmac_f32_e32 v17, v18, v17
	s_delay_alu instid0(VALU_DEP_1) | instskip(NEXT) | instid1(VALU_DEP_1)
	v_mul_f32_e32 v18, v19, v17
	v_fma_f32 v20, -v16, v18, v19
	s_delay_alu instid0(VALU_DEP_1) | instskip(NEXT) | instid1(VALU_DEP_1)
	v_fmac_f32_e32 v18, v20, v17
	v_fma_f32 v16, -v16, v18, v19
	s_delay_alu instid0(VALU_DEP_1) | instskip(SKIP_1) | instid1(VALU_DEP_2)
	v_div_fmas_f32 v16, v16, v17, v18
	v_cmp_le_i32_e32 vcc_lo, s9, v12
	v_div_fixup_f32 v4, v16, v4, 1.0
	s_or_b32 s3, vcc_lo, s3
	ds_store_b32 v14, v4
	v_add_nc_u32_e32 v14, v14, v13
	s_and_not1_b32 exec_lo, exec_lo, s3
	s_cbranch_execnz .LBB9_22
.LBB9_23:
	s_or_b32 exec_lo, exec_lo, s1
	s_cvt_f32_u32 s0, s4
	s_and_b32 s2, ttmp6, 15
	s_getreg_b32 s18, hwreg(HW_REG_IB_STS2, 6, 4)
	s_mul_i32 s19, s27, s11
	v_rcp_iflag_f32_e32 v1, s0
	s_bfe_u32 s0, ttmp6, 0x4000c
	s_mov_b32 s28, exec_lo
	s_add_co_i32 s0, s0, 1
	s_delay_alu instid0(SALU_CYCLE_1) | instskip(NEXT) | instid1(SALU_CYCLE_1)
	s_mul_i32 s0, ttmp9, s0
	s_add_co_i32 s2, s2, s0
	v_nop
	v_readfirstlane_b32 s1, v1
	s_cmp_eq_u32 s18, 0
	s_cselect_b32 s0, ttmp9, s2
	s_mul_f32 s1, s1, 0x4f7ffffe
	s_delay_alu instid0(SALU_CYCLE_3) | instskip(SKIP_1) | instid1(SALU_CYCLE_2)
	s_cvt_u32_f32 s3, s1
	s_sub_co_i32 s1, 0, s4
	s_mul_i32 s1, s1, s3
	s_delay_alu instid0(SALU_CYCLE_1)
	s_mul_hi_u32 s2, s3, s1
	s_mov_b32 s1, 0
	s_add_co_i32 s2, s3, s2
	s_mov_b32 s3, s1
	v_cmpx_gt_u32_e64 s19, v0
	s_cbranch_execz .LBB9_26
; %bb.24:
	s_lshl_b32 s29, s7, 3
	s_lshl_b32 s30, s9, 2
	v_dual_mov_b32 v2, 0 :: v_dual_lshlrev_b32 v1, 2, v0
	s_add_co_i32 s29, s29, s30
	s_lshl_b32 s30, s8, 2
	s_delay_alu instid0(SALU_CYCLE_1)
	s_add_co_i32 s29, s29, s30
	s_mov_b32 s30, s1
	v_add3_u32 v1, 0, s29, v1
	s_lshl_b32 s29, s27, 2
.LBB9_25:                               ; =>This Inner Loop Header: Depth=1
	v_add_nc_u32_e32 v0, s27, v0
	ds_store_b32 v1, v2
	v_add_nc_u32_e32 v1, s29, v1
	v_cmp_le_u32_e32 vcc_lo, s19, v0
	s_or_b32 s30, vcc_lo, s30
	s_delay_alu instid0(SALU_CYCLE_1)
	s_and_not1_b32 exec_lo, exec_lo, s30
	s_cbranch_execnz .LBB9_25
.LBB9_26:
	s_or_b32 exec_lo, exec_lo, s28
	s_mul_u64 s[2:3], s[0:1], s[2:3]
	s_cvt_f32_u32 s1, s17
	s_wait_dscnt 0x0
	s_barrier_signal -1
	s_barrier_wait -1
	v_rcp_iflag_f32_e32 v0, s1
	v_nop
	s_delay_alu instid0(TRANS32_DEP_1) | instskip(SKIP_1) | instid1(SALU_CYCLE_3)
	v_readfirstlane_b32 s1, v0
	s_mul_f32 s1, s1, 0x4f7ffffe
	s_cvt_u32_f32 s2, s1
	s_sub_co_i32 s1, 0, s17
	s_delay_alu instid0(SALU_CYCLE_2) | instskip(SKIP_4) | instid1(SALU_CYCLE_1)
	s_mul_i32 s19, s1, s2
	s_add_co_i32 s1, s6, -1
	s_mul_hi_u32 s19, s2, s19
	s_add_co_i32 s27, s1, s17
	s_add_co_i32 s2, s2, s19
	s_mul_hi_u32 s2, s27, s2
	s_delay_alu instid0(SALU_CYCLE_1) | instskip(NEXT) | instid1(SALU_CYCLE_1)
	s_mul_i32 s19, s2, s17
	s_sub_co_i32 s19, s27, s19
	s_add_co_i32 s27, s2, 1
	s_sub_co_i32 s28, s19, s17
	s_cmp_ge_u32 s19, s17
	s_cselect_b32 s2, s27, s2
	s_cselect_b32 s19, s28, s19
	s_add_co_i32 s27, s2, 1
	s_cmp_ge_u32 s19, s17
	s_cselect_b32 s2, s27, s2
	s_bfe_u32 s19, ttmp6, 0x40014
	s_bfe_u32 s29, ttmp6, 0x40010
	s_lshr_b32 s17, ttmp7, 16
	s_and_b32 s28, ttmp7, 0xffff
	s_add_co_i32 s19, s19, 1
	s_add_co_i32 s29, s29, 1
	s_bfe_u32 s27, ttmp6, 0x40008
	s_bfe_u32 s30, ttmp6, 0x40004
	s_mul_i32 s19, s17, s19
	s_mul_i32 s29, s28, s29
	s_add_co_i32 s27, s27, s19
	s_add_co_i32 s30, s30, s29
	s_cmp_eq_u32 s18, 0
	s_mov_b32 s19, 0
	s_cselect_b32 s17, s17, s27
	s_mov_b32 s18, exec_lo
	v_mad_u32 v9, s2, s17, v9
	s_cvt_f32_u32 s17, s16
	s_delay_alu instid0(SALU_CYCLE_3) | instskip(NEXT) | instid1(VALU_DEP_1)
	v_rcp_iflag_f32_e32 v0, s17
	v_add_min_i32_e64 v10, v9, s2, s6
	s_delay_alu instid0(TRANS32_DEP_1)
	v_readfirstlane_b32 s17, v0
	s_cselect_b32 s2, s28, s30
	v_cmpx_lt_i32_e64 v9, v10
	s_cbranch_execz .LBB9_44
; %bb.27:
	s_mul_f32 s17, s17, 0x4f7ffffe
	s_sub_co_i32 s27, 0, s16
	s_mul_i32 s28, s3, s4
	s_add_co_i32 s18, s7, s16
	s_cvt_u32_f32 s17, s17
	s_sub_co_i32 s31, s0, s28
	s_add_co_i32 s30, s3, 1
	s_add_co_i32 s18, s18, -1
	s_mul_i32 s27, s27, s17
	s_sub_co_i32 s33, s31, s4
	s_mul_hi_u32 s27, s17, s27
	s_mov_b32 s29, s19
	s_add_co_i32 s28, s17, s27
	s_cmp_ge_u32 s31, s4
	s_mul_u64 s[28:29], s[18:19], s[28:29]
	s_cselect_b32 s3, s30, s3
	s_cselect_b32 s17, s33, s31
	s_add_co_i32 s27, s3, 1
	s_cmp_ge_u32 s17, s4
	s_mul_i32 s17, s6, s5
	s_cselect_b32 s3, s27, s3
	s_mul_i32 s17, s17, s7
	s_mul_i32 s4, s3, s4
	v_mul_lo_u32 v0, s11, v8
	s_sub_co_i32 s0, s0, s4
	s_mul_i32 s4, s29, s16
	s_mul_i32 s30, s17, s0
	;; [unrolled: 1-line block ×3, first 2 shown]
	s_ashr_i32 s31, s30, 31
	s_ashr_i32 s35, s34, 31
	s_sub_co_i32 s0, s18, s4
	s_lshl_b64 s[30:31], s[30:31], 2
	s_lshl_b64 s[34:35], s[34:35], 2
	s_add_co_i32 s4, s29, 1
	s_sub_co_i32 s11, s0, s16
	s_cmp_ge_u32 s0, s16
	v_mul_lo_u32 v0, v0, s26
	s_cselect_b32 s4, s4, s29
	s_cselect_b32 s0, s11, s0
	s_add_co_i32 s11, s4, 1
	s_cmp_ge_u32 s0, s16
	v_mad_u32 v8, s3, s26, v7
	s_cselect_b32 s0, s11, s4
	s_abs_i32 s4, s6
	v_mad_u32 v11, s0, s2, v6
	s_cvt_f32_u32 s11, s4
	s_delay_alu instid0(VALU_DEP_3) | instskip(SKIP_1) | instid1(SALU_CYCLE_1)
	v_dual_lshlrev_b32 v2, 2, v7 :: v_dual_lshlrev_b32 v0, 2, v0
	s_lshl_b32 s3, s7, 2
	v_rcp_iflag_f32_e32 v1, s11
	s_wait_kmcnt 0x0
	s_add_nc_u64 s[16:17], s[22:23], s[34:35]
	s_lshl_b32 s23, s9, 2
	s_add_co_i32 s9, s3, 0
	s_lshl_b32 s18, s7, 3
	s_mul_i32 s12, s10, s26
	v_add_min_i32_e64 v12, v11, s0, s7
	v_readfirstlane_b32 s2, v1
	s_sub_co_i32 s0, 0, s4
	s_add_nc_u64 s[10:11], s[20:21], s[30:31]
	s_add_co_i32 s20, s9, s3
	v_mul_lo_u32 v13, s13, v8
	s_mul_f32 s2, s2, 0x4f7ffffe
	v_add3_u32 v0, v0, s18, v2
	s_lshl_b32 s22, s8, 2
	v_mov_b32_e32 v1, 0
	s_cvt_u32_f32 s2, s2
	s_ashr_i32 s6, s6, 31
	s_add_co_i32 s21, s20, s23
	s_mul_i32 s13, s12, s13
	s_mul_i32 s3, s0, s2
	v_cmp_lt_i32_e64 s0, v11, v12
	s_mul_hi_u32 s3, s2, s3
	v_cmp_gt_i32_e32 vcc_lo, s5, v8
	s_add_co_i32 s18, s2, s3
	s_add_co_i32 s2, s22, 0
	;; [unrolled: 1-line block ×3, first 2 shown]
	v_add3_u32 v14, s2, s23, v0
	s_lshl_b32 s23, s26, 2
	s_mov_b32 s26, s19
	s_branch .LBB9_29
.LBB9_28:                               ;   in Loop: Header=BB9_29 Depth=1
	s_or_b32 exec_lo, exec_lo, s27
	v_add_nc_u32_e32 v9, s25, v9
	s_delay_alu instid0(VALU_DEP_1) | instskip(SKIP_1) | instid1(SALU_CYCLE_1)
	v_cmp_ge_i32_e64 s1, v9, v10
	s_or_b32 s26, s1, s26
	s_and_not1_b32 exec_lo, exec_lo, s26
	s_cbranch_execz .LBB9_44
.LBB9_29:                               ; =>This Loop Header: Depth=1
                                        ;     Child Loop BB9_32 Depth 2
                                        ;       Child Loop BB9_35 Depth 3
                                        ;         Child Loop BB9_38 Depth 4
                                        ;           Child Loop BB9_40 Depth 5
                                        ;       Child Loop BB9_43 Depth 3
	s_and_saveexec_b32 s27, s0
	s_cbranch_execz .LBB9_28
; %bb.30:                               ;   in Loop: Header=BB9_29 Depth=1
	v_mul_lo_u32 v6, v9, s8
	v_mov_b32_e32 v17, v11
	s_mov_b32 s28, 0
	s_delay_alu instid0(VALU_DEP_2) | instskip(NEXT) | instid1(VALU_DEP_1)
	v_dual_sub_nc_u32 v0, 0, v6 :: v_dual_add_nc_u32 v7, s22, v6
	v_dual_sub_nc_u32 v4, 0, v7 :: v_dual_max_i32 v0, v6, v0
	s_delay_alu instid0(VALU_DEP_1) | instskip(NEXT) | instid1(VALU_DEP_1)
	v_mul_u64_e32 v[2:3], s[18:19], v[0:1]
	v_dual_ashrrev_i32 v6, 31, v6 :: v_dual_add_nc_u32 v15, 1, v3
	v_mul_lo_u32 v2, v3, s4
	s_delay_alu instid0(VALU_DEP_1) | instskip(NEXT) | instid1(VALU_DEP_1)
	v_dual_sub_nc_u32 v2, v0, v2 :: v_dual_max_i32 v0, v7, v4
	v_cmp_le_u32_e64 s1, s4, v2
	s_delay_alu instid0(VALU_DEP_2) | instskip(NEXT) | instid1(VALU_DEP_2)
	v_mul_u64_e32 v[4:5], s[18:19], v[0:1]
	v_cndmask_b32_e64 v3, v3, v15, s1
	v_subrev_nc_u32_e32 v15, s4, v2
	s_delay_alu instid0(VALU_DEP_3) | instskip(NEXT) | instid1(VALU_DEP_1)
	v_mul_lo_u32 v4, v5, s4
	v_dual_sub_nc_u32 v0, v0, v4 :: v_dual_bitop2_b32 v6, s6, v6 bitop3:0x14
	v_add_nc_u32_e32 v4, 1, v5
	s_delay_alu instid0(VALU_DEP_2) | instskip(SKIP_1) | instid1(VALU_DEP_1)
	v_subrev_nc_u32_e32 v16, s4, v0
	v_cmp_le_u32_e64 s2, s4, v0
	v_dual_cndmask_b32 v2, v2, v15, s1 :: v_dual_cndmask_b32 v0, v0, v16, s2
	s_delay_alu instid0(VALU_DEP_4) | instskip(SKIP_1) | instid1(VALU_DEP_3)
	v_dual_cndmask_b32 v4, v5, v4, s2 :: v_dual_ashrrev_i32 v5, 31, v7
	v_add_nc_u32_e32 v7, 1, v3
	v_cmp_le_u32_e64 s1, s4, v2
	s_delay_alu instid0(VALU_DEP_3) | instskip(NEXT) | instid1(VALU_DEP_2)
	v_dual_add_nc_u32 v15, 1, v4 :: v_dual_bitop2_b32 v5, s6, v5 bitop3:0x14
	v_cndmask_b32_e64 v2, v3, v7, s1
	v_cmp_le_u32_e64 s1, s4, v0
	s_delay_alu instid0(VALU_DEP_1) | instskip(NEXT) | instid1(VALU_DEP_1)
	v_dual_cndmask_b32 v0, v4, v15, s1 :: v_dual_bitop2_b32 v2, v2, v6 bitop3:0x14
	v_dual_sub_nc_u32 v15, v2, v6 :: v_dual_bitop2_b32 v3, v0, v5 bitop3:0x14
	v_mul_lo_u32 v0, v9, s7
	s_delay_alu instid0(VALU_DEP_2) | instskip(NEXT) | instid1(VALU_DEP_1)
	v_sub_nc_u32_e32 v16, v3, v5
	v_cmp_lt_i32_e64 s1, v15, v16
	s_branch .LBB9_32
.LBB9_31:                               ;   in Loop: Header=BB9_32 Depth=2
	s_or_b32 exec_lo, exec_lo, s3
	v_add_nc_u32_e32 v17, s24, v17
	s_delay_alu instid0(VALU_DEP_1) | instskip(SKIP_1) | instid1(SALU_CYCLE_1)
	v_cmp_ge_i32_e64 s2, v17, v12
	s_or_b32 s28, s2, s28
	s_and_not1_b32 exec_lo, exec_lo, s28
	s_cbranch_execz .LBB9_28
.LBB9_32:                               ;   Parent Loop BB9_29 Depth=1
                                        ; =>  This Loop Header: Depth=2
                                        ;       Child Loop BB9_35 Depth 3
                                        ;         Child Loop BB9_38 Depth 4
                                        ;           Child Loop BB9_40 Depth 5
                                        ;       Child Loop BB9_43 Depth 3
	s_delay_alu instid0(VALU_DEP_1)
	s_and_saveexec_b32 s29, s1
	s_cbranch_execz .LBB9_41
; %bb.33:                               ;   in Loop: Header=BB9_32 Depth=2
	v_dual_lshlrev_b32 v2, 2, v17 :: v_dual_mov_b32 v20, v15
	s_mov_b32 s30, 0
	s_delay_alu instid0(VALU_DEP_1)
	v_dual_add_nc_u32 v3, 0, v2 :: v_dual_add_nc_u32 v2, s9, v2
	ds_load_b32 v18, v3
	ds_load_b32 v19, v2
	s_wait_dscnt 0x0
	v_cmp_lt_i32_e64 s2, v18, v19
	s_branch .LBB9_35
.LBB9_34:                               ;   in Loop: Header=BB9_35 Depth=3
	s_or_b32 exec_lo, exec_lo, s31
	v_add_nc_u32_e32 v20, 1, v20
	s_delay_alu instid0(VALU_DEP_1) | instskip(SKIP_1) | instid1(SALU_CYCLE_1)
	v_cmp_ge_i32_e64 s3, v20, v16
	s_or_b32 s30, s3, s30
	s_and_not1_b32 exec_lo, exec_lo, s30
	s_cbranch_execz .LBB9_41
.LBB9_35:                               ;   Parent Loop BB9_29 Depth=1
                                        ;     Parent Loop BB9_32 Depth=2
                                        ; =>    This Loop Header: Depth=3
                                        ;         Child Loop BB9_38 Depth 4
                                        ;           Child Loop BB9_40 Depth 5
	s_delay_alu instid0(VALU_DEP_1)
	s_and_saveexec_b32 s31, s2
	s_cbranch_execz .LBB9_34
; %bb.36:                               ;   in Loop: Header=BB9_35 Depth=3
	v_mul_lo_u32 v2, v20, s14
	v_lshl_add_u32 v21, v20, 2, s21
	s_mov_b32 s33, 0
	s_delay_alu instid0(VALU_DEP_2) | instskip(NEXT) | instid1(VALU_DEP_1)
	v_dual_mov_b32 v22, v18 :: v_dual_ashrrev_i32 v3, 31, v2
	v_lshl_add_u64 v[2:3], v[2:3], 2, s[16:17]
	s_branch .LBB9_38
.LBB9_37:                               ;   in Loop: Header=BB9_38 Depth=4
	s_or_b32 exec_lo, exec_lo, s34
	v_add_nc_u32_e32 v22, 1, v22
	s_delay_alu instid0(VALU_DEP_1) | instskip(SKIP_1) | instid1(SALU_CYCLE_1)
	v_cmp_ge_i32_e64 s3, v22, v19
	s_or_b32 s33, s3, s33
	s_and_not1_b32 exec_lo, exec_lo, s33
	s_cbranch_execz .LBB9_34
.LBB9_38:                               ;   Parent Loop BB9_29 Depth=1
                                        ;     Parent Loop BB9_32 Depth=2
                                        ;       Parent Loop BB9_35 Depth=3
                                        ; =>      This Loop Header: Depth=4
                                        ;           Child Loop BB9_40 Depth 5
	s_and_saveexec_b32 s34, vcc_lo
	s_cbranch_execz .LBB9_37
; %bb.39:                               ;   in Loop: Header=BB9_38 Depth=4
	v_lshl_add_u32 v4, v22, 2, s20
	v_mul_lo_u32 v6, v22, s15
	s_mov_b32 s35, 0
	ds_load_b32 v5, v4
	ds_load_b32 v24, v21
	v_dual_mov_b32 v4, v13 :: v_dual_mov_b32 v25, v8
	v_dual_mov_b32 v23, v14 :: v_dual_ashrrev_i32 v7, 31, v6
	s_delay_alu instid0(VALU_DEP_1)
	v_lshl_add_u64 v[6:7], v[6:7], 2, v[2:3]
	s_wait_dscnt 0x0
	v_mul_f32_e32 v24, v5, v24
.LBB9_40:                               ;   Parent Loop BB9_29 Depth=1
                                        ;     Parent Loop BB9_32 Depth=2
                                        ;       Parent Loop BB9_35 Depth=3
                                        ;         Parent Loop BB9_38 Depth=4
                                        ; =>        This Inner Loop Header: Depth=5
	v_dual_ashrrev_i32 v5, 31, v4 :: v_dual_add_nc_u32 v25, s12, v25
	s_delay_alu instid0(VALU_DEP_1) | instskip(NEXT) | instid1(VALU_DEP_2)
	v_lshl_add_u64 v[26:27], v[4:5], 2, v[6:7]
	v_cmp_le_i32_e64 s3, s5, v25
	v_add_nc_u32_e32 v4, s13, v4
	global_load_b32 v5, v[26:27], off
	s_wait_xcnt 0x0
	ds_load_b32 v26, v23
	s_or_b32 s35, s3, s35
	s_wait_loadcnt_dscnt 0x0
	v_fmac_f32_e32 v26, v24, v5
	ds_store_b32 v23, v26
	v_add_nc_u32_e32 v23, s23, v23
	s_and_not1_b32 exec_lo, exec_lo, s35
	s_cbranch_execnz .LBB9_40
	s_branch .LBB9_37
.LBB9_41:                               ;   in Loop: Header=BB9_32 Depth=2
	s_or_b32 exec_lo, exec_lo, s29
	s_and_saveexec_b32 s3, vcc_lo
	s_cbranch_execz .LBB9_31
; %bb.42:                               ;   in Loop: Header=BB9_32 Depth=2
	s_delay_alu instid0(VALU_DEP_3) | instskip(SKIP_2) | instid1(VALU_DEP_2)
	v_dual_add_nc_u32 v2, v17, v0 :: v_dual_mov_b32 v6, v14
	s_mov_b32 s29, 0
	v_mov_b32_e32 v4, v8
	v_mul_lo_u32 v2, v2, s5
	s_delay_alu instid0(VALU_DEP_1) | instskip(NEXT) | instid1(VALU_DEP_1)
	v_ashrrev_i32_e32 v3, 31, v2
	v_lshl_add_u64 v[2:3], v[2:3], 2, s[10:11]
.LBB9_43:                               ;   Parent Loop BB9_29 Depth=1
                                        ;     Parent Loop BB9_32 Depth=2
                                        ; =>    This Inner Loop Header: Depth=3
	ds_load_b32 v7, v6
	v_ashrrev_i32_e32 v5, 31, v4
	ds_store_b32 v6, v1
	v_add_nc_u32_e32 v6, s23, v6
	v_lshl_add_u64 v[18:19], v[4:5], 2, v[2:3]
	v_add_nc_u32_e32 v4, s12, v4
	s_delay_alu instid0(VALU_DEP_1)
	v_cmp_le_i32_e64 s2, s5, v4
	s_or_b32 s29, s2, s29
	s_wait_dscnt 0x1
	global_store_b32 v[18:19], v7, off
	s_wait_xcnt 0x0
	s_and_not1_b32 exec_lo, exec_lo, s29
	s_cbranch_execnz .LBB9_43
	s_branch .LBB9_31
.LBB9_44:
	s_endpgm
	.section	.rodata,"a",@progbits
	.p2align	6, 0x0
	.amdhsa_kernel _ZN2at6native12_GLOBAL__N_131adaptive_average_gradinput_nhwcIifEEvPT0_PKS3_iiiiiiiiT_S7_S7_S7_
		.amdhsa_group_segment_fixed_size 0
		.amdhsa_private_segment_fixed_size 0
		.amdhsa_kernarg_size 320
		.amdhsa_user_sgpr_count 2
		.amdhsa_user_sgpr_dispatch_ptr 0
		.amdhsa_user_sgpr_queue_ptr 0
		.amdhsa_user_sgpr_kernarg_segment_ptr 1
		.amdhsa_user_sgpr_dispatch_id 0
		.amdhsa_user_sgpr_kernarg_preload_length 0
		.amdhsa_user_sgpr_kernarg_preload_offset 0
		.amdhsa_user_sgpr_private_segment_size 0
		.amdhsa_wavefront_size32 1
		.amdhsa_uses_dynamic_stack 0
		.amdhsa_enable_private_segment 0
		.amdhsa_system_sgpr_workgroup_id_x 1
		.amdhsa_system_sgpr_workgroup_id_y 1
		.amdhsa_system_sgpr_workgroup_id_z 1
		.amdhsa_system_sgpr_workgroup_info 0
		.amdhsa_system_vgpr_workitem_id 2
		.amdhsa_next_free_vgpr 30
		.amdhsa_next_free_sgpr 41
		.amdhsa_named_barrier_count 0
		.amdhsa_reserve_vcc 1
		.amdhsa_float_round_mode_32 0
		.amdhsa_float_round_mode_16_64 0
		.amdhsa_float_denorm_mode_32 3
		.amdhsa_float_denorm_mode_16_64 3
		.amdhsa_fp16_overflow 0
		.amdhsa_memory_ordered 1
		.amdhsa_forward_progress 1
		.amdhsa_inst_pref_size 46
		.amdhsa_round_robin_scheduling 0
		.amdhsa_exception_fp_ieee_invalid_op 0
		.amdhsa_exception_fp_denorm_src 0
		.amdhsa_exception_fp_ieee_div_zero 0
		.amdhsa_exception_fp_ieee_overflow 0
		.amdhsa_exception_fp_ieee_underflow 0
		.amdhsa_exception_fp_ieee_inexact 0
		.amdhsa_exception_int_div_zero 0
	.end_amdhsa_kernel
	.section	.text._ZN2at6native12_GLOBAL__N_131adaptive_average_gradinput_nhwcIifEEvPT0_PKS3_iiiiiiiiT_S7_S7_S7_,"axG",@progbits,_ZN2at6native12_GLOBAL__N_131adaptive_average_gradinput_nhwcIifEEvPT0_PKS3_iiiiiiiiT_S7_S7_S7_,comdat
.Lfunc_end9:
	.size	_ZN2at6native12_GLOBAL__N_131adaptive_average_gradinput_nhwcIifEEvPT0_PKS3_iiiiiiiiT_S7_S7_S7_, .Lfunc_end9-_ZN2at6native12_GLOBAL__N_131adaptive_average_gradinput_nhwcIifEEvPT0_PKS3_iiiiiiiiT_S7_S7_S7_
                                        ; -- End function
	.set _ZN2at6native12_GLOBAL__N_131adaptive_average_gradinput_nhwcIifEEvPT0_PKS3_iiiiiiiiT_S7_S7_S7_.num_vgpr, 30
	.set _ZN2at6native12_GLOBAL__N_131adaptive_average_gradinput_nhwcIifEEvPT0_PKS3_iiiiiiiiT_S7_S7_S7_.num_agpr, 0
	.set _ZN2at6native12_GLOBAL__N_131adaptive_average_gradinput_nhwcIifEEvPT0_PKS3_iiiiiiiiT_S7_S7_S7_.numbered_sgpr, 41
	.set _ZN2at6native12_GLOBAL__N_131adaptive_average_gradinput_nhwcIifEEvPT0_PKS3_iiiiiiiiT_S7_S7_S7_.num_named_barrier, 0
	.set _ZN2at6native12_GLOBAL__N_131adaptive_average_gradinput_nhwcIifEEvPT0_PKS3_iiiiiiiiT_S7_S7_S7_.private_seg_size, 0
	.set _ZN2at6native12_GLOBAL__N_131adaptive_average_gradinput_nhwcIifEEvPT0_PKS3_iiiiiiiiT_S7_S7_S7_.uses_vcc, 1
	.set _ZN2at6native12_GLOBAL__N_131adaptive_average_gradinput_nhwcIifEEvPT0_PKS3_iiiiiiiiT_S7_S7_S7_.uses_flat_scratch, 0
	.set _ZN2at6native12_GLOBAL__N_131adaptive_average_gradinput_nhwcIifEEvPT0_PKS3_iiiiiiiiT_S7_S7_S7_.has_dyn_sized_stack, 0
	.set _ZN2at6native12_GLOBAL__N_131adaptive_average_gradinput_nhwcIifEEvPT0_PKS3_iiiiiiiiT_S7_S7_S7_.has_recursion, 0
	.set _ZN2at6native12_GLOBAL__N_131adaptive_average_gradinput_nhwcIifEEvPT0_PKS3_iiiiiiiiT_S7_S7_S7_.has_indirect_call, 0
	.section	.AMDGPU.csdata,"",@progbits
; Kernel info:
; codeLenInByte = 5780
; TotalNumSgprs: 43
; NumVgprs: 30
; ScratchSize: 0
; MemoryBound: 0
; FloatMode: 240
; IeeeMode: 1
; LDSByteSize: 0 bytes/workgroup (compile time only)
; SGPRBlocks: 0
; VGPRBlocks: 1
; NumSGPRsForWavesPerEU: 43
; NumVGPRsForWavesPerEU: 30
; NamedBarCnt: 0
; Occupancy: 16
; WaveLimiterHint : 0
; COMPUTE_PGM_RSRC2:SCRATCH_EN: 0
; COMPUTE_PGM_RSRC2:USER_SGPR: 2
; COMPUTE_PGM_RSRC2:TRAP_HANDLER: 0
; COMPUTE_PGM_RSRC2:TGID_X_EN: 1
; COMPUTE_PGM_RSRC2:TGID_Y_EN: 1
; COMPUTE_PGM_RSRC2:TGID_Z_EN: 1
; COMPUTE_PGM_RSRC2:TIDIG_COMP_CNT: 2
	.section	.text._ZN2at6native12_GLOBAL__N_131adaptive_average_gradinput_nhwcIiN3c104HalfEEEvPT0_PKS5_iiiiiiiiT_S9_S9_S9_,"axG",@progbits,_ZN2at6native12_GLOBAL__N_131adaptive_average_gradinput_nhwcIiN3c104HalfEEEvPT0_PKS5_iiiiiiiiT_S9_S9_S9_,comdat
	.globl	_ZN2at6native12_GLOBAL__N_131adaptive_average_gradinput_nhwcIiN3c104HalfEEEvPT0_PKS5_iiiiiiiiT_S9_S9_S9_ ; -- Begin function _ZN2at6native12_GLOBAL__N_131adaptive_average_gradinput_nhwcIiN3c104HalfEEEvPT0_PKS5_iiiiiiiiT_S9_S9_S9_
	.p2align	8
	.type	_ZN2at6native12_GLOBAL__N_131adaptive_average_gradinput_nhwcIiN3c104HalfEEEvPT0_PKS5_iiiiiiiiT_S9_S9_S9_,@function
_ZN2at6native12_GLOBAL__N_131adaptive_average_gradinput_nhwcIiN3c104HalfEEEvPT0_PKS5_iiiiiiiiT_S9_S9_S9_: ; @_ZN2at6native12_GLOBAL__N_131adaptive_average_gradinput_nhwcIiN3c104HalfEEEvPT0_PKS5_iiiiiiiiT_S9_S9_S9_
; %bb.0:
	s_clause 0x1
	s_load_b128 s[16:19], s[0:1], 0x44
	s_load_b128 s[12:15], s[0:1], 0x30
	v_bfe_u32 v16, v0, 10, 10
	v_bfe_u32 v19, v0, 20, 10
	s_load_b256 s[4:11], s[0:1], 0x10
	v_and_b32_e32 v17, 0x3ff, v0
	s_mov_b32 s3, exec_lo
	s_wait_kmcnt 0x0
	s_lshr_b32 s24, s18, 16
	s_and_b32 s26, s18, 0xffff
	v_mad_u32_u24 v18, v19, s24, v16
	s_and_b32 s25, s19, 0xffff
	s_mul_i32 s27, s24, s26
	s_delay_alu instid0(SALU_CYCLE_1) | instskip(NEXT) | instid1(VALU_DEP_1)
	s_mul_i32 s27, s27, s25
	v_mad_u32 v0, v18, s26, v17
	s_delay_alu instid0(VALU_DEP_1)
	v_cmpx_gt_i32_e64 s7, v0
	s_cbranch_execz .LBB10_3
; %bb.1:
	s_abs_i32 s20, s7
	s_mul_i32 s28, s9, s24
	s_cvt_f32_u32 s2, s20
	s_sub_co_i32 s29, 0, s20
	v_lshl_add_u32 v4, v0, 2, 0
	v_dual_mov_b32 v3, 0 :: v_dual_mov_b32 v5, v0
	v_rcp_iflag_f32_e32 v1, s2
	s_add_co_i32 s2, s7, s9
	s_mov_b32 s19, 0
	s_mul_i32 s30, s28, s26
	s_ashr_i32 s21, s7, 31
	s_lshl_b32 s22, s27, 2
	s_lshl_b32 s23, s7, 2
	v_nop
	v_readfirstlane_b32 s18, v1
	v_mul_lo_u32 v1, s9, v0
	s_mov_b32 s28, s19
	s_mul_f32 s18, s18, 0x4f7ffffe
	s_delay_alu instid0(SALU_CYCLE_3) | instskip(NEXT) | instid1(VALU_DEP_1)
	s_cvt_u32_f32 s18, s18
	v_add3_u32 v6, s2, v1, -1
	s_delay_alu instid0(SALU_CYCLE_2) | instskip(NEXT) | instid1(SALU_CYCLE_1)
	s_mul_i32 s29, s29, s18
	s_mul_hi_u32 s2, s18, s29
	s_mul_i32 s29, s30, s25
	s_add_co_i32 s18, s18, s2
	s_mov_b32 s30, s19
.LBB10_2:                               ; =>This Inner Loop Header: Depth=1
	s_delay_alu instid0(SALU_CYCLE_1) | instskip(SKIP_1) | instid1(VALU_DEP_1)
	v_dual_add_nc_u32 v7, s30, v1 :: v_dual_add_nc_u32 v12, s30, v6
	s_add_co_i32 s30, s30, s29
	v_dual_add_nc_u32 v5, s27, v5 :: v_dual_sub_nc_u32 v2, 0, v7
	s_delay_alu instid0(VALU_DEP_1) | instskip(SKIP_1) | instid1(VALU_DEP_2)
	v_dual_sub_nc_u32 v10, 0, v12 :: v_dual_max_i32 v2, v7, v2
	v_ashrrev_i32_e32 v7, 31, v7
	v_mul_u64_e32 v[8:9], s[18:19], v[2:3]
	s_delay_alu instid0(VALU_DEP_2) | instskip(NEXT) | instid1(VALU_DEP_2)
	v_xor_b32_e32 v7, s21, v7
	v_mul_lo_u32 v8, v9, s20
	s_delay_alu instid0(VALU_DEP_1) | instskip(NEXT) | instid1(VALU_DEP_1)
	v_dual_sub_nc_u32 v8, v2, v8 :: v_dual_max_i32 v2, v12, v10
	v_cmp_le_u32_e32 vcc_lo, s20, v8
	s_delay_alu instid0(VALU_DEP_2) | instskip(SKIP_2) | instid1(VALU_DEP_2)
	v_mul_u64_e32 v[10:11], s[18:19], v[2:3]
	v_dual_ashrrev_i32 v10, 31, v12 :: v_dual_add_nc_u32 v12, 1, v9
	v_subrev_nc_u32_e32 v13, s20, v8
	v_dual_cndmask_b32 v9, v9, v12, vcc_lo :: v_dual_bitop2_b32 v10, s21, v10 bitop3:0x14
	s_delay_alu instid0(VALU_DEP_2) | instskip(NEXT) | instid1(VALU_DEP_2)
	v_cndmask_b32_e32 v8, v8, v13, vcc_lo
	v_add_nc_u32_e32 v12, 1, v9
	s_delay_alu instid0(VALU_DEP_2) | instskip(SKIP_1) | instid1(VALU_DEP_2)
	v_cmp_le_u32_e64 s2, s20, v8
	v_mul_lo_u32 v14, v11, s20
	v_dual_add_nc_u32 v13, 1, v11 :: v_dual_cndmask_b32 v9, v9, v12, s2
	s_delay_alu instid0(VALU_DEP_2) | instskip(NEXT) | instid1(VALU_DEP_1)
	v_sub_nc_u32_e32 v2, v2, v14
	v_cmp_le_u32_e32 vcc_lo, s20, v2
	s_delay_alu instid0(VALU_DEP_3) | instskip(SKIP_1) | instid1(VALU_DEP_1)
	v_cndmask_b32_e32 v11, v11, v13, vcc_lo
	v_subrev_nc_u32_e32 v14, s20, v2
	v_dual_add_nc_u32 v8, 1, v11 :: v_dual_cndmask_b32 v2, v2, v14, vcc_lo
	s_delay_alu instid0(VALU_DEP_1) | instskip(NEXT) | instid1(VALU_DEP_2)
	v_cmp_le_u32_e32 vcc_lo, s20, v2
	v_dual_cndmask_b32 v2, v11, v8, vcc_lo :: v_dual_bitop2_b32 v8, v9, v7 bitop3:0x14
	v_cmp_le_i32_e32 vcc_lo, s7, v5
	s_delay_alu instid0(VALU_DEP_2) | instskip(SKIP_2) | instid1(VALU_DEP_2)
	v_dual_sub_nc_u32 v7, v8, v7 :: v_dual_bitop2_b32 v2, v2, v10 bitop3:0x14
	v_add_nc_u32_e32 v8, s23, v4
	s_or_b32 s28, vcc_lo, s28
	v_sub_nc_u32_e32 v2, v2, v10
	ds_store_b32 v4, v7
	v_add_nc_u32_e32 v4, s22, v4
	ds_store_b32 v8, v2
	s_and_not1_b32 exec_lo, exec_lo, s28
	s_cbranch_execnz .LBB10_2
.LBB10_3:
	s_or_b32 exec_lo, exec_lo, s3
	s_load_b128 s[20:23], s[0:1], 0x0
	s_wait_xcnt 0x0
	s_cvt_f32_u32 s0, s27
	v_add_nc_u32_e32 v1, s25, v19
	s_mov_b32 s1, exec_lo
	s_delay_alu instid0(SALU_CYCLE_1) | instskip(NEXT) | instid1(VALU_DEP_1)
	v_rcp_iflag_f32_e32 v20, s0
	v_mad_u32_u24 v21, v1, s24, v16
	v_cmpx_gt_i32_e64 s8, v0
	s_cbranch_execz .LBB10_13
; %bb.4:
	s_delay_alu instid0(VALU_DEP_2) | instskip(NEXT) | instid1(TRANS32_DEP_1)
	v_mul_lo_u32 v1, v21, s26
	v_readfirstlane_b32 s0, v20
	s_sub_co_i32 s2, 0, s27
	s_mov_b32 s18, exec_lo
                                        ; implicit-def: $vgpr7
                                        ; implicit-def: $vgpr6
                                        ; implicit-def: $vgpr5
                                        ; implicit-def: $vgpr8
	s_mul_f32 s0, s0, 0x4f7ffffe
	s_delay_alu instid0(SALU_CYCLE_3) | instskip(SKIP_1) | instid1(SALU_CYCLE_2)
	s_cvt_u32_f32 s0, s0
	v_add_nc_u32_e32 v2, v17, v1
	s_mul_i32 s2, s2, s0
	s_delay_alu instid0(SALU_CYCLE_1) | instskip(NEXT) | instid1(VALU_DEP_1)
	s_mul_hi_u32 s2, s0, s2
	v_cmp_gt_i32_e32 vcc_lo, s8, v2
	v_max_i32_e32 v3, s8, v2
	s_add_co_i32 s0, s0, s2
                                        ; implicit-def: $sgpr2_sgpr3
	v_add_co_ci_u32_e64 v1, null, v17, v1, vcc_lo
	s_delay_alu instid0(VALU_DEP_1) | instskip(NEXT) | instid1(VALU_DEP_1)
	v_sub_nc_u32_e32 v1, v3, v1
	v_mul_hi_u32 v2, v1, s0
	s_delay_alu instid0(VALU_DEP_1) | instskip(NEXT) | instid1(VALU_DEP_1)
	v_mul_lo_u32 v3, v2, s27
	v_dual_sub_nc_u32 v1, v1, v3 :: v_dual_add_nc_u32 v3, 1, v2
	s_delay_alu instid0(VALU_DEP_1) | instskip(SKIP_1) | instid1(VALU_DEP_1)
	v_subrev_nc_u32_e32 v4, s27, v1
	v_cmp_le_u32_e64 s0, s27, v1
	v_dual_cndmask_b32 v2, v2, v3, s0 :: v_dual_cndmask_b32 v1, v1, v4, s0
                                        ; implicit-def: $vgpr4
	s_delay_alu instid0(VALU_DEP_1) | instskip(NEXT) | instid1(VALU_DEP_2)
	v_add_nc_u32_e32 v3, 1, v2
	v_cmp_le_u32_e64 s0, s27, v1
	s_delay_alu instid0(VALU_DEP_1) | instskip(SKIP_1) | instid1(VALU_DEP_1)
	v_cndmask_b32_e64 v1, v2, v3, s0
	s_mov_b32 s0, 0
	v_add_co_ci_u32_e64 v22, null, 1, v1, vcc_lo
                                        ; implicit-def: $vgpr1
	s_delay_alu instid0(VALU_DEP_1)
	v_cmpx_lt_u32_e32 3, v22
	s_xor_b32 s18, exec_lo, s18
	s_cbranch_execnz .LBB10_7
; %bb.5:
	s_or_saveexec_b32 s18, s18
	v_mov_b64_e32 v[2:3], s[2:3]
	s_xor_b32 exec_lo, exec_lo, s18
	s_cbranch_execnz .LBB10_10
.LBB10_6:
	s_or_b32 exec_lo, exec_lo, s18
	s_delay_alu instid0(SALU_CYCLE_1)
	s_and_b32 exec_lo, exec_lo, s0
	s_cbranch_execnz .LBB10_11
	s_branch .LBB10_13
.LBB10_7:
	s_abs_i32 s28, s8
	v_mad_u32 v3, s27, 3, v0
	s_cvt_f32_u32 s0, s28
	s_lshl_b32 s35, s27, 1
	v_dual_add_nc_u32 v1, s27, v0 :: v_dual_bitop2_b32 v23, -4, v22 bitop3:0x40
	s_delay_alu instid0(SALU_CYCLE_1)
	v_rcp_iflag_f32_e32 v2, s0
	s_lshl_b32 s44, s7, 3
	s_lshl_b32 s45, s9, 1
	s_sub_co_i32 s2, 0, s28
	s_add_co_i32 s46, s44, s45
	v_dual_mov_b32 v7, 0 :: v_dual_mov_b32 v25, v23
	s_delay_alu instid0(TRANS32_DEP_1)
	v_readfirstlane_b32 s0, v2
	v_dual_add_nc_u32 v2, s35, v0 :: v_dual_lshlrev_b32 v4, 1, v0
	s_add_co_i32 s19, s8, -1
	s_lshl_b32 s39, s27, 2
	s_mul_f32 s0, s0, 0x4f7ffffe
	s_mov_b32 s3, 0
	v_add3_u32 v24, 0, s46, v4
	v_mov_b64_e32 v[4:5], v[2:3]
	s_cvt_u32_f32 s0, s0
	v_mov_b64_e32 v[2:3], v[0:1]
	s_mov_b32 s29, s19
	s_mov_b32 s30, s19
	s_mul_i32 s2, s2, s0
	s_mov_b32 s31, s19
	s_mul_hi_u32 s2, s0, s2
	s_mov_b32 s33, s6
	s_mov_b32 s34, s6
	;; [unrolled: 1-line block ×7, first 2 shown]
	s_mul_i32 s43, s27, 6
	s_ashr_i32 s38, s8, 31
	s_add_co_i32 s2, s0, s2
	s_lshl_b32 s47, s27, 3
	s_mov_b32 s46, s3
.LBB10_8:                               ; =>This Inner Loop Header: Depth=1
	v_mul_lo_u32 v1, v2, s33
	v_dual_add_nc_u32 v33, s39, v24 :: v_dual_add_nc_u32 v34, s43, v24
	v_add_nc_u32_e32 v2, s39, v2
	s_delay_alu instid0(VALU_DEP_3) | instskip(SKIP_1) | instid1(VALU_DEP_2)
	v_add3_u32 v26, s19, s33, v1
	v_dual_ashrrev_i32 v35, 31, v1 :: v_dual_sub_nc_u32 v36, 0, v1
	v_sub_nc_u32_e32 v6, 0, v26
	s_delay_alu instid0(VALU_DEP_1) | instskip(NEXT) | instid1(VALU_DEP_1)
	v_max_i32_e32 v6, v26, v6
	v_mul_u64_e32 v[8:9], s[2:3], v[6:7]
	v_mul_lo_u32 v8, v3, s34
	v_add_nc_u32_e32 v3, s40, v3
	s_delay_alu instid0(VALU_DEP_2) | instskip(SKIP_1) | instid1(VALU_DEP_2)
	v_add3_u32 v27, s29, s34, v8
	v_dual_ashrrev_i32 v43, 31, v26 :: v_dual_ashrrev_i32 v37, 31, v8
	v_dual_sub_nc_u32 v38, 0, v8 :: v_dual_sub_nc_u32 v10, 0, v27
	v_ashrrev_i32_e32 v44, 31, v27
	v_mul_lo_u32 v11, v9, s28
	s_delay_alu instid0(VALU_DEP_1) | instskip(NEXT) | instid1(VALU_DEP_1)
	v_dual_sub_nc_u32 v28, v6, v11 :: v_dual_max_i32 v6, v27, v10
	v_cmp_le_u32_e32 vcc_lo, s28, v28
	s_delay_alu instid0(VALU_DEP_2) | instskip(SKIP_2) | instid1(VALU_DEP_2)
	v_mul_u64_e32 v[10:11], s[2:3], v[6:7]
	v_mul_lo_u32 v10, v4, s36
	v_add_nc_u32_e32 v4, s41, v4
	v_add3_u32 v29, s30, s36, v10
	v_dual_ashrrev_i32 v39, 31, v10 :: v_dual_sub_nc_u32 v40, 0, v10
	s_delay_alu instid0(VALU_DEP_1) | instskip(SKIP_1) | instid1(VALU_DEP_1)
	v_dual_sub_nc_u32 v13, 0, v29 :: v_dual_bitop2_b32 v39, s38, v39 bitop3:0x14
	v_mul_lo_u32 v12, v11, s28
	v_dual_sub_nc_u32 v30, v6, v12 :: v_dual_max_i32 v6, v29, v13
	s_delay_alu instid0(VALU_DEP_1) | instskip(SKIP_2) | instid1(VALU_DEP_2)
	v_mul_u64_e32 v[12:13], s[2:3], v[6:7]
	v_mul_lo_u32 v12, v5, s37
	v_add_nc_u32_e32 v5, s42, v5
	v_add3_u32 v31, s31, s37, v12
	v_dual_ashrrev_i32 v41, 31, v12 :: v_dual_sub_nc_u32 v42, 0, v12
	v_ashrrev_i32_e32 v29, 31, v29
	v_mul_lo_u32 v14, v13, s28
	s_delay_alu instid0(VALU_DEP_1) | instskip(NEXT) | instid1(VALU_DEP_1)
	v_dual_sub_nc_u32 v15, 0, v31 :: v_dual_sub_nc_u32 v32, v6, v14
	v_max_i32_e32 v6, v31, v15
	s_delay_alu instid0(VALU_DEP_4) | instskip(NEXT) | instid1(VALU_DEP_2)
	v_dual_ashrrev_i32 v31, 31, v31 :: v_dual_bitop2_b32 v29, s38, v29 bitop3:0x14
	v_mul_u64_e32 v[14:15], s[2:3], v[6:7]
	v_add_nc_u32_e32 v14, s35, v24
	s_delay_alu instid0(VALU_DEP_2) | instskip(NEXT) | instid1(VALU_DEP_1)
	v_mul_lo_u32 v26, v15, s28
	v_dual_sub_nc_u32 v45, v6, v26 :: v_dual_bitop2_b32 v35, s38, v35 bitop3:0x14
	v_dual_add_nc_u32 v36, 1, v9 :: v_dual_max_i32 v6, v1, v36
	s_delay_alu instid0(VALU_DEP_1) | instskip(NEXT) | instid1(VALU_DEP_1)
	v_dual_cndmask_b32 v9, v9, v36, vcc_lo :: v_dual_bitop2_b32 v37, s38, v37 bitop3:0x14
	v_add_nc_u32_e32 v36, 1, v9
	s_delay_alu instid0(VALU_DEP_3) | instskip(SKIP_2) | instid1(VALU_DEP_1)
	v_mul_u64_e32 v[26:27], s[2:3], v[6:7]
	v_xor_b32_e32 v1, s38, v43
	v_subrev_nc_u32_e32 v43, s28, v28
	v_dual_cndmask_b32 v28, v28, v43, vcc_lo :: v_dual_bitop2_b32 v41, s38, v41 bitop3:0x14
	v_subrev_nc_u32_e32 v43, s28, v30
	s_delay_alu instid0(VALU_DEP_2) | instskip(SKIP_2) | instid1(VALU_DEP_2)
	v_cmp_le_u32_e32 vcc_lo, s28, v28
	v_dual_cndmask_b32 v9, v9, v36 :: v_dual_add_nc_u32 v36, 1, v11
	v_cmp_le_u32_e32 vcc_lo, s28, v30
	v_xor_b32_e32 v9, v9, v1
	s_delay_alu instid0(VALU_DEP_1) | instskip(SKIP_1) | instid1(VALU_DEP_1)
	v_dual_sub_nc_u32 v1, v9, v1 :: v_dual_bitop2_b32 v26, s38, v44 bitop3:0x14
	v_mul_lo_u32 v28, v27, s28
	v_dual_sub_nc_u32 v28, v6, v28 :: v_dual_bitop2_b32 v31, s38, v31 bitop3:0x14
	v_max_i32_e32 v6, v8, v38
	s_delay_alu instid0(VALU_DEP_1) | instskip(SKIP_1) | instid1(VALU_DEP_1)
	v_mul_u64_e32 v[8:9], s[2:3], v[6:7]
	v_dual_cndmask_b32 v8, v11, v36 :: v_dual_cndmask_b32 v11, v30, v43
	v_add_nc_u32_e32 v30, 1, v8
	s_delay_alu instid0(VALU_DEP_2) | instskip(NEXT) | instid1(VALU_DEP_2)
	v_cmp_le_u32_e32 vcc_lo, s28, v11
	v_dual_cndmask_b32 v8, v8, v30 :: v_dual_add_nc_u32 v11, 1, v13
	v_cmp_le_u32_e32 vcc_lo, s28, v32
	s_delay_alu instid0(VALU_DEP_2) | instskip(SKIP_1) | instid1(VALU_DEP_2)
	v_dual_cndmask_b32 v13, v13, v11, vcc_lo :: v_dual_bitop2_b32 v8, v8, v26 bitop3:0x14
	v_subrev_nc_u32_e32 v11, s28, v32
	v_dual_sub_nc_u32 v8, v8, v26 :: v_dual_add_nc_u32 v30, 1, v13
	s_delay_alu instid0(VALU_DEP_2) | instskip(NEXT) | instid1(VALU_DEP_1)
	v_cndmask_b32_e32 v11, v32, v11, vcc_lo
	v_cmp_le_u32_e32 vcc_lo, s28, v11
	v_mul_lo_u32 v26, v9, s28
	s_delay_alu instid0(VALU_DEP_1) | instskip(SKIP_1) | instid1(VALU_DEP_1)
	v_sub_nc_u32_e32 v26, v6, v26
	v_max_i32_e32 v6, v10, v40
	v_mul_u64_e32 v[10:11], s[2:3], v[6:7]
	v_dual_cndmask_b32 v10, v13, v30 :: v_dual_add_nc_u32 v13, 1, v15
	v_cmp_le_u32_e32 vcc_lo, s28, v45
	s_delay_alu instid0(VALU_DEP_2) | instskip(NEXT) | instid1(VALU_DEP_3)
	v_dual_add_nc_u32 v30, 1, v27 :: v_dual_bitop2_b32 v10, v10, v29 bitop3:0x14
	v_cndmask_b32_e32 v13, v15, v13, vcc_lo
	s_delay_alu instid0(VALU_DEP_2) | instskip(SKIP_1) | instid1(VALU_DEP_1)
	v_sub_nc_u32_e32 v10, v10, v29
	v_subrev_nc_u32_e32 v29, s28, v45
	v_cndmask_b32_e32 v15, v45, v29, vcc_lo
	s_delay_alu instid0(VALU_DEP_4) | instskip(NEXT) | instid1(VALU_DEP_2)
	v_add_nc_u32_e32 v29, 1, v13
	v_cmp_le_u32_e32 vcc_lo, s28, v15
	s_delay_alu instid0(VALU_DEP_2) | instskip(SKIP_2) | instid1(VALU_DEP_3)
	v_cndmask_b32_e32 v13, v13, v29, vcc_lo
	v_cmp_le_u32_e32 vcc_lo, s28, v28
	v_mul_lo_u32 v15, v11, s28
	v_xor_b32_e32 v13, v13, v31
	s_delay_alu instid0(VALU_DEP_1) | instskip(SKIP_1) | instid1(VALU_DEP_4)
	v_sub_nc_u32_e32 v29, v13, v31
	v_subrev_nc_u32_e32 v31, s28, v28
	v_dual_sub_nc_u32 v15, v6, v15 :: v_dual_max_i32 v6, v12, v42
	s_delay_alu instid0(VALU_DEP_1) | instskip(NEXT) | instid1(VALU_DEP_3)
	v_mul_u64_e32 v[12:13], s[2:3], v[6:7]
	v_dual_cndmask_b32 v12, v27, v30 :: v_dual_cndmask_b32 v27, v28, v31
	s_delay_alu instid0(VALU_DEP_1) | instskip(NEXT) | instid1(VALU_DEP_2)
	v_add_nc_u32_e32 v28, 1, v12
	v_cmp_le_u32_e32 vcc_lo, s28, v27
	s_delay_alu instid0(VALU_DEP_2) | instskip(SKIP_2) | instid1(VALU_DEP_2)
	v_dual_cndmask_b32 v12, v12, v28 :: v_dual_add_nc_u32 v27, 1, v9
	v_subrev_nc_u32_e32 v28, s28, v26
	v_cmp_le_u32_e32 vcc_lo, s28, v26
	v_dual_cndmask_b32 v9, v9, v27 :: v_dual_cndmask_b32 v26, v26, v28
	s_delay_alu instid0(VALU_DEP_1) | instskip(SKIP_1) | instid1(VALU_DEP_1)
	v_cmp_le_u32_e32 vcc_lo, s28, v26
	v_mul_lo_u32 v26, v13, s28
	v_dual_add_nc_u32 v27, 1, v9 :: v_dual_sub_nc_u32 v6, v6, v26
	s_delay_alu instid0(VALU_DEP_1)
	v_cndmask_b32_e32 v9, v9, v27, vcc_lo
	v_cmp_le_u32_e32 vcc_lo, s28, v15
	v_subrev_nc_u32_e32 v26, s28, v15
	v_add_nc_u32_e32 v27, 1, v11
	v_cmp_le_u32_e64 s0, s28, v6
	v_subrev_nc_u32_e32 v28, s28, v6
	s_delay_alu instid0(VALU_DEP_4) | instskip(NEXT) | instid1(VALU_DEP_4)
	v_cndmask_b32_e32 v15, v15, v26, vcc_lo
	v_dual_cndmask_b32 v11, v11, v27, vcc_lo :: v_dual_add_nc_u32 v27, 1, v13
	s_delay_alu instid0(VALU_DEP_3) | instskip(NEXT) | instid1(VALU_DEP_3)
	v_cndmask_b32_e64 v6, v6, v28, s0
	v_cmp_le_u32_e32 vcc_lo, s28, v15
	s_delay_alu instid0(VALU_DEP_3) | instskip(NEXT) | instid1(VALU_DEP_1)
	v_add_nc_u32_e32 v26, 1, v11
	v_dual_cndmask_b32 v13, v13, v27, s0 :: v_dual_cndmask_b32 v11, v11, v26, vcc_lo
	s_delay_alu instid0(VALU_DEP_1) | instskip(SKIP_1) | instid1(VALU_DEP_3)
	v_add_nc_u32_e32 v27, 1, v13
	v_cmp_le_u32_e32 vcc_lo, s28, v6
	v_xor_b32_e32 v11, v11, v39
	s_delay_alu instid0(VALU_DEP_1) | instskip(NEXT) | instid1(VALU_DEP_1)
	v_dual_sub_nc_u32 v11, v39, v11 :: v_dual_bitop2_b32 v9, v9, v37 bitop3:0x14
	v_dual_sub_nc_u32 v9, v37, v9 :: v_dual_bitop2_b32 v12, v12, v35 bitop3:0x14
	s_delay_alu instid0(VALU_DEP_1) | instskip(NEXT) | instid1(VALU_DEP_2)
	v_dual_cndmask_b32 v6, v13, v27, vcc_lo :: v_dual_sub_nc_u32 v12, v35, v12
	v_dual_add_nc_u32 v8, v8, v9 :: v_dual_add_nc_u32 v9, v10, v11
	s_delay_alu instid0(VALU_DEP_2) | instskip(NEXT) | instid1(VALU_DEP_2)
	v_dual_add_nc_u32 v1, v1, v12 :: v_dual_bitop2_b32 v6, v6, v41 bitop3:0x14
	v_cvt_f32_i32_e32 v8, v8
	s_delay_alu instid0(VALU_DEP_3) | instskip(NEXT) | instid1(VALU_DEP_3)
	v_cvt_f32_i32_e32 v9, v9
	v_sub_nc_u32_e32 v6, v41, v6
	s_delay_alu instid0(VALU_DEP_4) | instskip(NEXT) | instid1(VALU_DEP_2)
	v_cvt_f32_i32_e32 v1, v1
	v_add_nc_u32_e32 v6, v29, v6
	s_delay_alu instid0(VALU_DEP_2) | instskip(NEXT) | instid1(VALU_DEP_2)
	v_cvt_pk_f16_f32 v1, v1, v8
	v_cvt_f32_i32_e32 v6, v6
	s_delay_alu instid0(VALU_DEP_2) | instskip(SKIP_1) | instid1(VALU_DEP_2)
	v_lshrrev_b32_e32 v8, 16, v1
	v_rcp_f16_e32 v1, v1
	v_cvt_pk_f16_f32 v6, v9, v6
	v_add_nc_u32_e32 v25, -4, v25
	s_delay_alu instid0(VALU_DEP_3) | instskip(NEXT) | instid1(VALU_DEP_2)
	v_rcp_f16_e32 v8, v8
	v_lshrrev_b32_e32 v9, 16, v6
	s_delay_alu instid0(VALU_DEP_2)
	v_cmp_eq_u32_e32 vcc_lo, 0, v25
	v_rcp_f16_e32 v6, v6
	ds_store_b16 v24, v1
	v_add_nc_u32_e32 v24, s47, v24
	v_rcp_f16_e32 v9, v9
	s_or_b32 s46, vcc_lo, s46
	ds_store_b16 v14, v8
	ds_store_b16 v33, v6
	;; [unrolled: 1-line block ×3, first 2 shown]
	s_and_not1_b32 exec_lo, exec_lo, s46
	s_cbranch_execnz .LBB10_8
; %bb.9:
	s_or_b32 exec_lo, exec_lo, s46
	v_mad_u32 v7, v23, s27, v0
	v_cmp_ne_u32_e32 vcc_lo, v22, v23
	v_dual_mov_b32 v8, s35 :: v_dual_mov_b32 v4, s45
	v_dual_mov_b32 v5, s44 :: v_dual_mov_b32 v6, s28
	v_mov_b32_e32 v1, s38
	s_and_b32 s0, vcc_lo, exec_lo
	s_or_saveexec_b32 s18, s18
	v_mov_b64_e32 v[2:3], s[2:3]
	s_xor_b32 exec_lo, exec_lo, s18
	s_cbranch_execz .LBB10_6
.LBB10_10:
	s_abs_i32 s2, s8
	s_ashr_i32 s28, s8, 31
	s_cvt_f32_u32 s3, s2
	s_sub_co_i32 s33, 0, s2
	s_lshl_b32 s29, s7, 3
	s_lshl_b32 s30, s9, 1
	v_rcp_iflag_f32_e32 v1, s3
	s_mov_b32 s3, 0
	s_lshl_b32 s31, s27, 1
	v_dual_mov_b32 v5, s29 :: v_dual_mov_b32 v4, s30
	v_dual_mov_b32 v8, s31 :: v_dual_mov_b32 v7, v0
	s_delay_alu instid0(TRANS32_DEP_1) | instskip(SKIP_3) | instid1(SALU_CYCLE_3)
	v_readfirstlane_b32 s19, v1
	v_dual_mov_b32 v1, s28 :: v_dual_mov_b32 v6, s2
	s_or_b32 s0, s0, exec_lo
	s_mul_f32 s19, s19, 0x4f7ffffe
	s_cvt_u32_f32 s19, s19
	s_delay_alu instid0(SALU_CYCLE_3) | instskip(NEXT) | instid1(SALU_CYCLE_1)
	s_mul_i32 s33, s33, s19
	s_mul_hi_u32 s2, s19, s33
	s_delay_alu instid0(SALU_CYCLE_1) | instskip(NEXT) | instid1(SALU_CYCLE_1)
	s_add_co_i32 s2, s19, s2
	v_mov_b64_e32 v[2:3], s[2:3]
	s_or_b32 exec_lo, exec_lo, s18
	s_delay_alu instid0(SALU_CYCLE_1)
	s_and_b32 exec_lo, exec_lo, s0
	s_cbranch_execz .LBB10_13
.LBB10_11:
	v_mul_lo_u32 v9, v7, s6
	v_lshl_add_u32 v5, v7, 1, v5
	s_add_co_i32 s2, s8, s6
	s_mul_i32 s0, s6, s24
	s_mov_b32 s3, 0
	s_mul_i32 s0, s0, s26
	v_add3_u32 v10, v5, v4, 0
	v_mov_b32_e32 v5, 0
	s_mov_b32 s18, 0
	s_delay_alu instid0(VALU_DEP_4)
	v_add3_u32 v11, s2, v9, -1
	s_mul_i32 s2, s0, s25
.LBB10_12:                              ; =>This Inner Loop Header: Depth=1
	s_delay_alu instid0(VALU_DEP_1) | instskip(SKIP_1) | instid1(VALU_DEP_1)
	v_dual_add_nc_u32 v22, s18, v11 :: v_dual_add_nc_u32 v23, s18, v9
	s_add_co_i32 s18, s18, s2
	v_dual_add_nc_u32 v7, s27, v7 :: v_dual_sub_nc_u32 v4, 0, v22
	s_delay_alu instid0(VALU_DEP_1) | instskip(NEXT) | instid1(VALU_DEP_1)
	v_dual_sub_nc_u32 v14, 0, v23 :: v_dual_max_i32 v4, v22, v4
	v_mul_u64_e32 v[12:13], v[4:5], v[2:3]
	s_delay_alu instid0(VALU_DEP_1) | instskip(NEXT) | instid1(VALU_DEP_1)
	v_mul_lo_u32 v12, v13, v6
	v_dual_sub_nc_u32 v12, v4, v12 :: v_dual_max_i32 v4, v23, v14
	s_delay_alu instid0(VALU_DEP_1) | instskip(NEXT) | instid1(VALU_DEP_2)
	v_cmp_ge_u32_e32 vcc_lo, v12, v6
	v_mul_u64_e32 v[14:15], v[4:5], v[2:3]
	v_dual_ashrrev_i32 v14, 31, v22 :: v_dual_ashrrev_i32 v22, 31, v23
	s_delay_alu instid0(VALU_DEP_1) | instskip(NEXT) | instid1(VALU_DEP_3)
	v_xor_b32_e32 v14, v14, v1
	v_mul_lo_u32 v23, v15, v6
	s_delay_alu instid0(VALU_DEP_1) | instskip(NEXT) | instid1(VALU_DEP_1)
	v_dual_add_nc_u32 v24, 1, v13 :: v_dual_sub_nc_u32 v4, v4, v23
	v_dual_cndmask_b32 v13, v13, v24, vcc_lo :: v_dual_bitop2_b32 v22, v22, v1 bitop3:0x14
	v_dual_add_nc_u32 v24, 1, v15 :: v_dual_sub_nc_u32 v23, v12, v6
	s_delay_alu instid0(VALU_DEP_3) | instskip(SKIP_1) | instid1(VALU_DEP_3)
	v_cmp_ge_u32_e64 s0, v4, v6
	v_sub_nc_u32_e32 v25, v4, v6
	v_dual_cndmask_b32 v12, v12, v23 :: v_dual_add_nc_u32 v23, 1, v13
	s_delay_alu instid0(VALU_DEP_2) | instskip(NEXT) | instid1(VALU_DEP_2)
	v_dual_cndmask_b32 v15, v15, v24, s0 :: v_dual_cndmask_b32 v4, v4, v25, s0
	v_cmp_ge_u32_e32 vcc_lo, v12, v6
	s_delay_alu instid0(VALU_DEP_2) | instskip(NEXT) | instid1(VALU_DEP_4)
	v_add_nc_u32_e32 v24, 1, v15
	v_cndmask_b32_e32 v12, v13, v23, vcc_lo
	s_delay_alu instid0(VALU_DEP_4) | instskip(NEXT) | instid1(VALU_DEP_3)
	v_cmp_ge_u32_e32 vcc_lo, v4, v6
	v_cndmask_b32_e32 v4, v15, v24, vcc_lo
	v_cmp_le_i32_e32 vcc_lo, s8, v7
	s_delay_alu instid0(VALU_DEP_2) | instskip(SKIP_2) | instid1(VALU_DEP_1)
	v_xor_b32_e32 v4, v4, v22
	v_xor_b32_e32 v12, v12, v14
	s_or_b32 s3, vcc_lo, s3
	v_dual_sub_nc_u32 v4, v22, v4 :: v_dual_sub_nc_u32 v12, v12, v14
	s_delay_alu instid0(VALU_DEP_1) | instskip(NEXT) | instid1(VALU_DEP_1)
	v_add_nc_u32_e32 v4, v12, v4
	v_cvt_f32_i32_e32 v4, v4
	s_delay_alu instid0(VALU_DEP_1) | instskip(NEXT) | instid1(VALU_DEP_1)
	v_cvt_f16_f32_e32 v4, v4
	v_rcp_f16_e32 v4, v4
	ds_store_b16 v10, v4
	v_add_nc_u32_e32 v10, v10, v8
	s_and_not1_b32 exec_lo, exec_lo, s3
	s_cbranch_execnz .LBB10_12
.LBB10_13:
	s_or_b32 exec_lo, exec_lo, s1
	s_delay_alu instid0(SALU_CYCLE_1)
	s_mov_b32 s1, exec_lo
	v_cmpx_gt_i32_e64 s9, v0
	s_cbranch_execz .LBB10_23
; %bb.14:
	v_mul_lo_u32 v1, v21, s26
	v_readfirstlane_b32 s0, v20
	s_sub_co_i32 s2, 0, s27
	s_mov_b32 s18, exec_lo
                                        ; implicit-def: $vgpr7
                                        ; implicit-def: $vgpr6
                                        ; implicit-def: $vgpr8
	s_mul_f32 s0, s0, 0x4f7ffffe
	s_delay_alu instid0(SALU_CYCLE_3) | instskip(SKIP_1) | instid1(SALU_CYCLE_2)
	s_cvt_u32_f32 s0, s0
	v_add_nc_u32_e32 v2, v17, v1
	s_mul_i32 s2, s2, s0
	s_delay_alu instid0(SALU_CYCLE_1) | instskip(NEXT) | instid1(VALU_DEP_1)
	s_mul_hi_u32 s2, s0, s2
	v_cmp_gt_i32_e32 vcc_lo, s9, v2
	v_max_i32_e32 v3, s9, v2
	s_add_co_i32 s0, s0, s2
                                        ; implicit-def: $sgpr2_sgpr3
	v_add_co_ci_u32_e64 v1, null, v17, v1, vcc_lo
	s_delay_alu instid0(VALU_DEP_1) | instskip(NEXT) | instid1(VALU_DEP_1)
	v_sub_nc_u32_e32 v1, v3, v1
	v_mul_hi_u32 v2, v1, s0
	s_delay_alu instid0(VALU_DEP_1) | instskip(NEXT) | instid1(VALU_DEP_1)
	v_mul_lo_u32 v3, v2, s27
	v_dual_sub_nc_u32 v1, v1, v3 :: v_dual_add_nc_u32 v3, 1, v2
	s_delay_alu instid0(VALU_DEP_1) | instskip(SKIP_1) | instid1(VALU_DEP_1)
	v_subrev_nc_u32_e32 v4, s27, v1
	v_cmp_le_u32_e64 s0, s27, v1
	v_dual_cndmask_b32 v2, v2, v3, s0 :: v_dual_cndmask_b32 v1, v1, v4, s0
                                        ; implicit-def: $vgpr4
	s_delay_alu instid0(VALU_DEP_1) | instskip(NEXT) | instid1(VALU_DEP_2)
	v_add_nc_u32_e32 v3, 1, v2
	v_cmp_le_u32_e64 s0, s27, v1
	s_delay_alu instid0(VALU_DEP_1) | instskip(SKIP_1) | instid1(VALU_DEP_1)
	v_cndmask_b32_e64 v1, v2, v3, s0
	s_mov_b32 s0, 0
	v_add_co_ci_u32_e64 v20, null, 1, v1, vcc_lo
                                        ; implicit-def: $vgpr1
	s_delay_alu instid0(VALU_DEP_1)
	v_cmpx_lt_u32_e32 3, v20
	s_xor_b32 s18, exec_lo, s18
	s_cbranch_execnz .LBB10_17
; %bb.15:
	s_or_saveexec_b32 s18, s18
	v_mov_b64_e32 v[2:3], s[2:3]
	s_xor_b32 exec_lo, exec_lo, s18
	s_cbranch_execnz .LBB10_20
.LBB10_16:
	s_or_b32 exec_lo, exec_lo, s18
	s_delay_alu instid0(SALU_CYCLE_1)
	s_and_b32 exec_lo, exec_lo, s0
	s_cbranch_execnz .LBB10_21
	s_branch .LBB10_23
.LBB10_17:
	s_abs_i32 s28, s9
	v_mad_u32 v3, s27, 3, v0
	s_cvt_f32_u32 s0, s28
	s_lshl_b32 s35, s27, 1
	v_dual_mov_b32 v7, 0 :: v_dual_bitop2_b32 v21, -4, v20 bitop3:0x40
	s_delay_alu instid0(SALU_CYCLE_1) | instskip(SKIP_1) | instid1(VALU_DEP_2)
	v_rcp_iflag_f32_e32 v2, s0
	v_dual_add_nc_u32 v1, s27, v0 :: v_dual_lshlrev_b32 v4, 1, v0
	v_mov_b32_e32 v23, v21
	s_lshl_b32 s44, s7, 3
	s_sub_co_i32 s2, 0, s28
	s_add_co_i32 s19, s9, -1
	s_delay_alu instid0(TRANS32_DEP_1)
	v_readfirstlane_b32 s0, v2
	v_add_nc_u32_e32 v2, s35, v0
	v_add3_u32 v22, 0, s44, v4
	s_lshl_b32 s39, s27, 2
	s_mov_b32 s3, 0
	s_mul_f32 s0, s0, 0x4f7ffffe
	v_mov_b64_e32 v[4:5], v[2:3]
	v_mov_b64_e32 v[2:3], v[0:1]
	s_mov_b32 s29, s19
	s_cvt_u32_f32 s0, s0
	s_mov_b32 s30, s19
	s_mov_b32 s31, s19
	;; [unrolled: 1-line block ×3, first 2 shown]
	s_mul_i32 s2, s2, s0
	s_mov_b32 s34, s7
	s_mul_hi_u32 s2, s0, s2
	s_mov_b32 s36, s7
	s_mov_b32 s37, s7
	;; [unrolled: 1-line block ×5, first 2 shown]
	s_mul_i32 s43, s27, 6
	s_ashr_i32 s38, s9, 31
	s_add_co_i32 s2, s0, s2
	s_lshl_b32 s46, s27, 3
	s_mov_b32 s45, s3
.LBB10_18:                              ; =>This Inner Loop Header: Depth=1
	v_mul_lo_u32 v1, v2, s33
	v_dual_add_nc_u32 v31, s39, v22 :: v_dual_add_nc_u32 v32, s43, v22
	v_add_nc_u32_e32 v2, s39, v2
	s_delay_alu instid0(VALU_DEP_3) | instskip(SKIP_1) | instid1(VALU_DEP_2)
	v_add3_u32 v24, s19, s33, v1
	v_dual_ashrrev_i32 v33, 31, v1 :: v_dual_sub_nc_u32 v34, 0, v1
	v_sub_nc_u32_e32 v6, 0, v24
	s_delay_alu instid0(VALU_DEP_1) | instskip(NEXT) | instid1(VALU_DEP_1)
	v_max_i32_e32 v6, v24, v6
	v_mul_u64_e32 v[8:9], s[2:3], v[6:7]
	v_mul_lo_u32 v8, v3, s34
	v_add_nc_u32_e32 v3, s40, v3
	s_delay_alu instid0(VALU_DEP_2) | instskip(SKIP_2) | instid1(VALU_DEP_3)
	v_add3_u32 v25, s29, s34, v8
	v_ashrrev_i32_e32 v41, 31, v24
	v_dual_ashrrev_i32 v35, 31, v8 :: v_dual_sub_nc_u32 v36, 0, v8
	v_dual_sub_nc_u32 v10, 0, v25 :: v_dual_ashrrev_i32 v42, 31, v25
	s_delay_alu instid0(VALU_DEP_2) | instskip(SKIP_1) | instid1(VALU_DEP_1)
	v_xor_b32_e32 v35, s38, v35
	v_mul_lo_u32 v11, v9, s28
	v_dual_sub_nc_u32 v26, v6, v11 :: v_dual_max_i32 v6, v25, v10
	s_delay_alu instid0(VALU_DEP_1) | instskip(NEXT) | instid1(VALU_DEP_2)
	v_cmp_le_u32_e32 vcc_lo, s28, v26
	v_mul_u64_e32 v[10:11], s[2:3], v[6:7]
	v_mul_lo_u32 v10, v4, s36
	v_add_nc_u32_e32 v4, s41, v4
	s_delay_alu instid0(VALU_DEP_2) | instskip(SKIP_1) | instid1(VALU_DEP_2)
	v_add3_u32 v27, s30, s36, v10
	v_dual_ashrrev_i32 v37, 31, v10 :: v_dual_sub_nc_u32 v38, 0, v10
	v_sub_nc_u32_e32 v13, 0, v27
	v_mul_lo_u32 v12, v11, s28
	s_delay_alu instid0(VALU_DEP_1) | instskip(NEXT) | instid1(VALU_DEP_1)
	v_dual_sub_nc_u32 v28, v6, v12 :: v_dual_max_i32 v6, v27, v13
	v_mul_u64_e32 v[12:13], s[2:3], v[6:7]
	v_mul_lo_u32 v12, v5, s37
	v_add_nc_u32_e32 v5, s42, v5
	s_delay_alu instid0(VALU_DEP_2) | instskip(SKIP_3) | instid1(VALU_DEP_1)
	v_add3_u32 v29, s31, s37, v12
	v_dual_ashrrev_i32 v39, 31, v12 :: v_dual_sub_nc_u32 v40, 0, v12
	v_ashrrev_i32_e32 v27, 31, v27
	v_mul_lo_u32 v14, v13, s28
	v_dual_sub_nc_u32 v15, 0, v29 :: v_dual_sub_nc_u32 v30, v6, v14
	s_delay_alu instid0(VALU_DEP_1) | instskip(NEXT) | instid1(VALU_DEP_1)
	v_dual_ashrrev_i32 v29, 31, v29 :: v_dual_max_i32 v6, v29, v15
	v_mul_u64_e32 v[14:15], s[2:3], v[6:7]
	s_delay_alu instid0(VALU_DEP_2) | instskip(NEXT) | instid1(VALU_DEP_2)
	v_dual_add_nc_u32 v14, s35, v22 :: v_dual_bitop2_b32 v29, s38, v29 bitop3:0x14
	v_mul_lo_u32 v24, v15, s28
	s_delay_alu instid0(VALU_DEP_1) | instskip(SKIP_1) | instid1(VALU_DEP_1)
	v_dual_sub_nc_u32 v43, v6, v24 :: v_dual_bitop2_b32 v33, s38, v33 bitop3:0x14
	v_dual_add_nc_u32 v34, 1, v9 :: v_dual_max_i32 v6, v1, v34
	v_dual_cndmask_b32 v9, v9, v34, vcc_lo :: v_dual_bitop2_b32 v37, s38, v37 bitop3:0x14
	s_delay_alu instid0(VALU_DEP_1) | instskip(NEXT) | instid1(VALU_DEP_3)
	v_add_nc_u32_e32 v34, 1, v9
	v_mul_u64_e32 v[24:25], s[2:3], v[6:7]
	v_xor_b32_e32 v1, s38, v41
	v_subrev_nc_u32_e32 v41, s28, v26
	s_delay_alu instid0(VALU_DEP_1) | instskip(SKIP_1) | instid1(VALU_DEP_2)
	v_dual_cndmask_b32 v26, v26, v41, vcc_lo :: v_dual_bitop2_b32 v39, s38, v39 bitop3:0x14
	v_subrev_nc_u32_e32 v41, s28, v28
	v_cmp_le_u32_e32 vcc_lo, s28, v26
	v_dual_cndmask_b32 v9, v9, v34 :: v_dual_add_nc_u32 v34, 1, v11
	v_cmp_le_u32_e32 vcc_lo, s28, v28
	s_delay_alu instid0(VALU_DEP_2) | instskip(NEXT) | instid1(VALU_DEP_1)
	v_xor_b32_e32 v9, v9, v1
	v_dual_sub_nc_u32 v1, v9, v1 :: v_dual_bitop2_b32 v24, s38, v42 bitop3:0x14
	v_mul_lo_u32 v26, v25, s28
	s_delay_alu instid0(VALU_DEP_1) | instskip(SKIP_1) | instid1(VALU_DEP_1)
	v_dual_sub_nc_u32 v26, v6, v26 :: v_dual_bitop2_b32 v27, s38, v27 bitop3:0x14
	v_max_i32_e32 v6, v8, v36
	v_mul_u64_e32 v[8:9], s[2:3], v[6:7]
	v_dual_cndmask_b32 v8, v11, v34 :: v_dual_cndmask_b32 v11, v28, v41
	s_delay_alu instid0(VALU_DEP_1) | instskip(NEXT) | instid1(VALU_DEP_2)
	v_add_nc_u32_e32 v28, 1, v8
	v_cmp_le_u32_e32 vcc_lo, s28, v11
	s_delay_alu instid0(VALU_DEP_2) | instskip(SKIP_1) | instid1(VALU_DEP_2)
	v_dual_cndmask_b32 v8, v8, v28 :: v_dual_add_nc_u32 v11, 1, v13
	v_cmp_le_u32_e32 vcc_lo, s28, v30
	v_cndmask_b32_e32 v13, v13, v11, vcc_lo
	v_subrev_nc_u32_e32 v11, s28, v30
	s_delay_alu instid0(VALU_DEP_2) | instskip(NEXT) | instid1(VALU_DEP_1)
	v_dual_add_nc_u32 v28, 1, v13 :: v_dual_bitop2_b32 v8, v8, v24 bitop3:0x14
	v_dual_cndmask_b32 v11, v30, v11 :: v_dual_sub_nc_u32 v8, v8, v24
	s_delay_alu instid0(VALU_DEP_1) | instskip(SKIP_1) | instid1(VALU_DEP_1)
	v_cmp_le_u32_e32 vcc_lo, s28, v11
	v_mul_lo_u32 v24, v9, s28
	v_sub_nc_u32_e32 v24, v6, v24
	v_max_i32_e32 v6, v10, v38
	s_delay_alu instid0(VALU_DEP_1) | instskip(SKIP_2) | instid1(VALU_DEP_2)
	v_mul_u64_e32 v[10:11], s[2:3], v[6:7]
	v_dual_cndmask_b32 v10, v13, v28 :: v_dual_add_nc_u32 v13, 1, v15
	v_cmp_le_u32_e32 vcc_lo, s28, v43
	v_dual_add_nc_u32 v28, 1, v25 :: v_dual_bitop2_b32 v10, v10, v27 bitop3:0x14
	s_delay_alu instid0(VALU_DEP_1) | instskip(SKIP_1) | instid1(VALU_DEP_1)
	v_dual_cndmask_b32 v13, v15, v13 :: v_dual_sub_nc_u32 v10, v10, v27
	v_subrev_nc_u32_e32 v27, s28, v43
	v_cndmask_b32_e32 v15, v43, v27, vcc_lo
	s_delay_alu instid0(VALU_DEP_1) | instskip(SKIP_1) | instid1(VALU_DEP_1)
	v_cmp_le_u32_e32 vcc_lo, s28, v15
	v_mul_lo_u32 v15, v11, s28
	v_dual_add_nc_u32 v27, 1, v13 :: v_dual_sub_nc_u32 v15, v6, v15
	s_delay_alu instid0(VALU_DEP_1) | instskip(SKIP_2) | instid1(VALU_DEP_3)
	v_cndmask_b32_e32 v13, v13, v27, vcc_lo
	v_cmp_le_u32_e32 vcc_lo, s28, v26
	v_max_i32_e32 v6, v12, v40
	v_xor_b32_e32 v13, v13, v29
	s_delay_alu instid0(VALU_DEP_1) | instskip(NEXT) | instid1(VALU_DEP_3)
	v_sub_nc_u32_e32 v27, v13, v29
	v_mul_u64_e32 v[12:13], s[2:3], v[6:7]
	v_subrev_nc_u32_e32 v29, s28, v26
	s_delay_alu instid0(VALU_DEP_1) | instskip(NEXT) | instid1(VALU_DEP_1)
	v_dual_cndmask_b32 v12, v25, v28 :: v_dual_cndmask_b32 v25, v26, v29
	v_cmp_le_u32_e32 vcc_lo, s28, v25
	s_delay_alu instid0(VALU_DEP_2) | instskip(NEXT) | instid1(VALU_DEP_1)
	v_dual_add_nc_u32 v25, 1, v9 :: v_dual_add_nc_u32 v26, 1, v12
	v_cndmask_b32_e32 v12, v12, v26, vcc_lo
	v_cmp_le_u32_e32 vcc_lo, s28, v24
	v_subrev_nc_u32_e32 v26, s28, v24
	s_delay_alu instid0(VALU_DEP_4) | instskip(NEXT) | instid1(VALU_DEP_1)
	v_cndmask_b32_e32 v9, v9, v25, vcc_lo
	v_dual_cndmask_b32 v24, v24, v26 :: v_dual_add_nc_u32 v25, 1, v9
	s_delay_alu instid0(VALU_DEP_1) | instskip(SKIP_1) | instid1(VALU_DEP_3)
	v_cmp_le_u32_e32 vcc_lo, s28, v24
	v_mul_lo_u32 v24, v13, s28
	v_dual_cndmask_b32 v9, v9, v25, vcc_lo :: v_dual_add_nc_u32 v25, 1, v11
	v_cmp_le_u32_e32 vcc_lo, s28, v15
	s_delay_alu instid0(VALU_DEP_2) | instskip(SKIP_1) | instid1(VALU_DEP_2)
	v_dual_sub_nc_u32 v6, v6, v24 :: v_dual_bitop2_b32 v9, v9, v35 bitop3:0x14
	v_subrev_nc_u32_e32 v24, s28, v15
	v_sub_nc_u32_e32 v9, v35, v9
	s_delay_alu instid0(VALU_DEP_3) | instskip(SKIP_1) | instid1(VALU_DEP_4)
	v_cmp_le_u32_e64 s0, s28, v6
	v_cndmask_b32_e32 v11, v11, v25, vcc_lo
	v_dual_add_nc_u32 v25, 1, v13 :: v_dual_cndmask_b32 v15, v15, v24, vcc_lo
	v_subrev_nc_u32_e32 v26, s28, v6
	v_add_nc_u32_e32 v8, v8, v9
	s_delay_alu instid0(VALU_DEP_3) | instskip(NEXT) | instid1(VALU_DEP_3)
	v_dual_cndmask_b32 v13, v13, v25, s0 :: v_dual_add_nc_u32 v24, 1, v11
	v_cndmask_b32_e64 v6, v6, v26, s0
	v_cmp_le_u32_e32 vcc_lo, s28, v15
	s_delay_alu instid0(VALU_DEP_3) | instskip(NEXT) | instid1(VALU_DEP_3)
	v_dual_add_nc_u32 v25, 1, v13 :: v_dual_cndmask_b32 v11, v11, v24, vcc_lo
	v_cmp_le_u32_e32 vcc_lo, s28, v6
	s_delay_alu instid0(VALU_DEP_2) | instskip(NEXT) | instid1(VALU_DEP_1)
	v_xor_b32_e32 v11, v11, v37
	v_dual_sub_nc_u32 v11, v37, v11 :: v_dual_bitop2_b32 v12, v12, v33 bitop3:0x14
	s_delay_alu instid0(VALU_DEP_4) | instskip(NEXT) | instid1(VALU_DEP_2)
	v_cndmask_b32_e32 v6, v13, v25, vcc_lo
	v_dual_sub_nc_u32 v12, v33, v12 :: v_dual_add_nc_u32 v9, v10, v11
	s_delay_alu instid0(VALU_DEP_1) | instskip(NEXT) | instid1(VALU_DEP_2)
	v_dual_add_nc_u32 v1, v1, v12 :: v_dual_bitop2_b32 v6, v6, v39 bitop3:0x14
	v_cvt_f32_i32_e32 v9, v9
	s_delay_alu instid0(VALU_DEP_2) | instskip(NEXT) | instid1(VALU_DEP_3)
	v_sub_nc_u32_e32 v6, v39, v6
	v_cvt_f32_i32_e32 v1, v1
	s_delay_alu instid0(VALU_DEP_2) | instskip(SKIP_1) | instid1(VALU_DEP_2)
	v_add_nc_u32_e32 v6, v27, v6
	v_cvt_f32_i32_e32 v8, v8
	v_cvt_f32_i32_e32 v6, v6
	s_delay_alu instid0(VALU_DEP_2) | instskip(SKIP_1) | instid1(VALU_DEP_3)
	v_cvt_pk_f16_f32 v1, v1, v8
	v_add_nc_u32_e32 v23, -4, v23
	v_cvt_pk_f16_f32 v6, v9, v6
	s_delay_alu instid0(VALU_DEP_3) | instskip(SKIP_1) | instid1(VALU_DEP_3)
	v_lshrrev_b32_e32 v8, 16, v1
	v_rcp_f16_e32 v1, v1
	v_cmp_eq_u32_e32 vcc_lo, 0, v23
	s_delay_alu instid0(VALU_DEP_3) | instskip(NEXT) | instid1(VALU_DEP_3)
	v_lshrrev_b32_e32 v9, 16, v6
	v_rcp_f16_e32 v8, v8
	v_rcp_f16_e32 v6, v6
	s_or_b32 s45, vcc_lo, s45
	ds_store_b16 v22, v1
	v_rcp_f16_e32 v9, v9
	v_add_nc_u32_e32 v22, s46, v22
	ds_store_b16 v14, v8
	ds_store_b16 v31, v6
	;; [unrolled: 1-line block ×3, first 2 shown]
	s_and_not1_b32 exec_lo, exec_lo, s45
	s_cbranch_execnz .LBB10_18
; %bb.19:
	s_or_b32 exec_lo, exec_lo, s45
	v_mad_u32 v7, v21, s27, v0
	v_cmp_ne_u32_e32 vcc_lo, v20, v21
	v_dual_mov_b32 v8, s35 :: v_dual_mov_b32 v4, s44
	v_dual_mov_b32 v6, s28 :: v_dual_mov_b32 v1, s38
	s_and_b32 s0, vcc_lo, exec_lo
	s_or_saveexec_b32 s18, s18
	v_mov_b64_e32 v[2:3], s[2:3]
	s_xor_b32 exec_lo, exec_lo, s18
	s_cbranch_execz .LBB10_16
.LBB10_20:
	s_abs_i32 s2, s9
	s_ashr_i32 s28, s9, 31
	s_cvt_f32_u32 s3, s2
	s_sub_co_i32 s31, 0, s2
	s_lshl_b32 s29, s7, 3
	s_lshl_b32 s30, s27, 1
	v_rcp_iflag_f32_e32 v1, s3
	v_dual_mov_b32 v4, s29 :: v_dual_mov_b32 v8, s30
	v_mov_b32_e32 v7, v0
	s_or_b32 s0, s0, exec_lo
	v_mov_b32_e32 v6, s2
	s_delay_alu instid0(TRANS32_DEP_1) | instskip(SKIP_3) | instid1(SALU_CYCLE_2)
	v_readfirstlane_b32 s3, v1
	v_mov_b32_e32 v1, s28
	s_mul_f32 s19, s3, 0x4f7ffffe
	s_mov_b32 s3, 0
	s_cvt_u32_f32 s19, s19
	s_delay_alu instid0(SALU_CYCLE_3) | instskip(NEXT) | instid1(SALU_CYCLE_1)
	s_mul_i32 s31, s31, s19
	s_mul_hi_u32 s2, s19, s31
	s_delay_alu instid0(SALU_CYCLE_1) | instskip(NEXT) | instid1(SALU_CYCLE_1)
	s_add_co_i32 s2, s19, s2
	v_mov_b64_e32 v[2:3], s[2:3]
	s_or_b32 exec_lo, exec_lo, s18
	s_delay_alu instid0(SALU_CYCLE_1)
	s_and_b32 exec_lo, exec_lo, s0
	s_cbranch_execz .LBB10_23
.LBB10_21:
	v_mul_lo_u32 v9, v7, s7
	v_lshlrev_b32_e32 v5, 1, v7
	s_add_co_i32 s2, s9, s7
	s_mul_i32 s0, s7, s24
	s_mov_b32 s3, 0
	s_mul_i32 s0, s0, s26
	v_add3_u32 v10, v4, v5, 0
	v_mov_b32_e32 v5, 0
	s_mov_b32 s18, 0
	s_delay_alu instid0(VALU_DEP_4)
	v_add3_u32 v11, s2, v9, -1
	s_mul_i32 s2, s0, s25
.LBB10_22:                              ; =>This Inner Loop Header: Depth=1
	s_delay_alu instid0(VALU_DEP_1) | instskip(SKIP_1) | instid1(VALU_DEP_1)
	v_dual_add_nc_u32 v20, s18, v11 :: v_dual_add_nc_u32 v21, s18, v9
	s_add_co_i32 s18, s18, s2
	v_dual_add_nc_u32 v7, s27, v7 :: v_dual_sub_nc_u32 v4, 0, v20
	s_delay_alu instid0(VALU_DEP_1) | instskip(NEXT) | instid1(VALU_DEP_1)
	v_dual_sub_nc_u32 v14, 0, v21 :: v_dual_max_i32 v4, v20, v4
	v_mul_u64_e32 v[12:13], v[4:5], v[2:3]
	s_delay_alu instid0(VALU_DEP_1) | instskip(NEXT) | instid1(VALU_DEP_1)
	v_mul_lo_u32 v12, v13, v6
	v_dual_sub_nc_u32 v12, v4, v12 :: v_dual_max_i32 v4, v21, v14
	v_add_nc_u32_e32 v22, 1, v13
	s_delay_alu instid0(VALU_DEP_2) | instskip(NEXT) | instid1(VALU_DEP_3)
	v_cmp_ge_u32_e32 vcc_lo, v12, v6
	v_mul_u64_e32 v[14:15], v[4:5], v[2:3]
	v_dual_ashrrev_i32 v14, 31, v20 :: v_dual_ashrrev_i32 v20, 31, v21
	s_delay_alu instid0(VALU_DEP_1) | instskip(NEXT) | instid1(VALU_DEP_3)
	v_xor_b32_e32 v20, v20, v1
	v_mul_lo_u32 v21, v15, v6
	s_delay_alu instid0(VALU_DEP_1) | instskip(NEXT) | instid1(VALU_DEP_4)
	v_sub_nc_u32_e32 v4, v4, v21
	v_dual_sub_nc_u32 v21, v12, v6 :: v_dual_bitop2_b32 v14, v14, v1 bitop3:0x14
	v_dual_cndmask_b32 v13, v13, v22 :: v_dual_add_nc_u32 v22, 1, v15
	s_delay_alu instid0(VALU_DEP_3) | instskip(SKIP_1) | instid1(VALU_DEP_1)
	v_sub_nc_u32_e32 v23, v4, v6
	v_cmp_ge_u32_e64 s0, v4, v6
	v_dual_cndmask_b32 v15, v15, v22, s0 :: v_dual_cndmask_b32 v12, v12, v21, vcc_lo
	s_delay_alu instid0(VALU_DEP_3) | instskip(NEXT) | instid1(VALU_DEP_2)
	v_dual_add_nc_u32 v21, 1, v13 :: v_dual_cndmask_b32 v4, v4, v23, s0
	v_add_nc_u32_e32 v22, 1, v15
	s_delay_alu instid0(VALU_DEP_3) | instskip(NEXT) | instid1(VALU_DEP_3)
	v_cmp_ge_u32_e32 vcc_lo, v12, v6
	v_cndmask_b32_e32 v12, v13, v21, vcc_lo
	s_delay_alu instid0(VALU_DEP_4) | instskip(NEXT) | instid1(VALU_DEP_4)
	v_cmp_ge_u32_e32 vcc_lo, v4, v6
	v_cndmask_b32_e32 v4, v15, v22, vcc_lo
	s_delay_alu instid0(VALU_DEP_3) | instskip(SKIP_1) | instid1(VALU_DEP_3)
	v_xor_b32_e32 v12, v12, v14
	v_cmp_le_i32_e32 vcc_lo, s9, v7
	v_xor_b32_e32 v4, v4, v20
	s_delay_alu instid0(VALU_DEP_3) | instskip(SKIP_1) | instid1(VALU_DEP_2)
	v_sub_nc_u32_e32 v12, v12, v14
	s_or_b32 s3, vcc_lo, s3
	v_sub_nc_u32_e32 v4, v20, v4
	s_delay_alu instid0(VALU_DEP_1) | instskip(NEXT) | instid1(VALU_DEP_1)
	v_add_nc_u32_e32 v4, v12, v4
	v_cvt_f32_i32_e32 v4, v4
	s_delay_alu instid0(VALU_DEP_1) | instskip(NEXT) | instid1(VALU_DEP_1)
	v_cvt_f16_f32_e32 v4, v4
	v_rcp_f16_e32 v4, v4
	ds_store_b16 v10, v4
	v_add_nc_u32_e32 v10, v10, v8
	s_and_not1_b32 exec_lo, exec_lo, s3
	s_cbranch_execnz .LBB10_22
.LBB10_23:
	s_or_b32 exec_lo, exec_lo, s1
	s_cvt_f32_u32 s0, s4
	s_and_b32 s2, ttmp6, 15
	s_getreg_b32 s18, hwreg(HW_REG_IB_STS2, 6, 4)
	s_mul_i32 s19, s27, s11
	v_rcp_iflag_f32_e32 v1, s0
	s_bfe_u32 s0, ttmp6, 0x4000c
	s_mov_b32 s28, exec_lo
	s_add_co_i32 s0, s0, 1
	s_delay_alu instid0(SALU_CYCLE_1) | instskip(NEXT) | instid1(SALU_CYCLE_1)
	s_mul_i32 s0, ttmp9, s0
	s_add_co_i32 s2, s2, s0
	v_nop
	v_readfirstlane_b32 s1, v1
	s_cmp_eq_u32 s18, 0
	s_cselect_b32 s0, ttmp9, s2
	s_mul_f32 s1, s1, 0x4f7ffffe
	s_delay_alu instid0(SALU_CYCLE_3) | instskip(SKIP_1) | instid1(SALU_CYCLE_2)
	s_cvt_u32_f32 s3, s1
	s_sub_co_i32 s1, 0, s4
	s_mul_i32 s1, s1, s3
	s_delay_alu instid0(SALU_CYCLE_1)
	s_mul_hi_u32 s2, s3, s1
	s_mov_b32 s1, 0
	s_add_co_i32 s2, s3, s2
	s_mov_b32 s3, s1
	v_cmpx_gt_u32_e64 s19, v0
	s_cbranch_execz .LBB10_26
; %bb.24:
	s_lshl_b32 s29, s7, 3
	s_lshl_b32 s30, s9, 1
	v_dual_mov_b32 v2, 0 :: v_dual_lshlrev_b32 v1, 1, v0
	s_add_co_i32 s29, s29, s30
	s_lshl_b32 s30, s8, 1
	s_delay_alu instid0(SALU_CYCLE_1)
	s_add_co_i32 s29, s29, s30
	s_mov_b32 s30, s1
	v_add3_u32 v1, 0, s29, v1
	s_lshl_b32 s29, s27, 1
.LBB10_25:                              ; =>This Inner Loop Header: Depth=1
	v_add_nc_u32_e32 v0, s27, v0
	ds_store_b16 v1, v2
	v_add_nc_u32_e32 v1, s29, v1
	v_cmp_le_u32_e32 vcc_lo, s19, v0
	s_or_b32 s30, vcc_lo, s30
	s_delay_alu instid0(SALU_CYCLE_1)
	s_and_not1_b32 exec_lo, exec_lo, s30
	s_cbranch_execnz .LBB10_25
.LBB10_26:
	s_or_b32 exec_lo, exec_lo, s28
	s_mul_u64 s[2:3], s[0:1], s[2:3]
	s_cvt_f32_u32 s1, s17
	s_wait_dscnt 0x0
	s_barrier_signal -1
	s_barrier_wait -1
	v_rcp_iflag_f32_e32 v0, s1
	v_nop
	s_delay_alu instid0(TRANS32_DEP_1) | instskip(SKIP_1) | instid1(SALU_CYCLE_3)
	v_readfirstlane_b32 s1, v0
	s_mul_f32 s1, s1, 0x4f7ffffe
	s_cvt_u32_f32 s2, s1
	s_sub_co_i32 s1, 0, s17
	s_delay_alu instid0(SALU_CYCLE_2) | instskip(SKIP_4) | instid1(SALU_CYCLE_1)
	s_mul_i32 s19, s1, s2
	s_add_co_i32 s1, s6, -1
	s_mul_hi_u32 s19, s2, s19
	s_add_co_i32 s27, s1, s17
	s_add_co_i32 s2, s2, s19
	s_mul_hi_u32 s2, s27, s2
	s_delay_alu instid0(SALU_CYCLE_1) | instskip(NEXT) | instid1(SALU_CYCLE_1)
	s_mul_i32 s19, s2, s17
	s_sub_co_i32 s19, s27, s19
	s_add_co_i32 s27, s2, 1
	s_sub_co_i32 s28, s19, s17
	s_cmp_ge_u32 s19, s17
	s_cselect_b32 s2, s27, s2
	s_cselect_b32 s19, s28, s19
	s_add_co_i32 s27, s2, 1
	s_cmp_ge_u32 s19, s17
	s_cselect_b32 s2, s27, s2
	s_bfe_u32 s19, ttmp6, 0x40014
	s_bfe_u32 s29, ttmp6, 0x40010
	s_lshr_b32 s17, ttmp7, 16
	s_and_b32 s28, ttmp7, 0xffff
	s_add_co_i32 s19, s19, 1
	s_add_co_i32 s29, s29, 1
	s_bfe_u32 s27, ttmp6, 0x40008
	s_bfe_u32 s30, ttmp6, 0x40004
	s_mul_i32 s19, s17, s19
	s_mul_i32 s29, s28, s29
	s_add_co_i32 s27, s27, s19
	s_add_co_i32 s30, s30, s29
	s_cmp_eq_u32 s18, 0
	s_mov_b32 s19, 0
	s_cselect_b32 s17, s17, s27
	s_mov_b32 s18, exec_lo
	v_mad_u32 v8, s2, s17, v19
	s_cvt_f32_u32 s17, s16
	s_delay_alu instid0(SALU_CYCLE_3) | instskip(NEXT) | instid1(VALU_DEP_1)
	v_rcp_iflag_f32_e32 v0, s17
	v_add_min_i32_e64 v9, v8, s2, s6
	s_delay_alu instid0(TRANS32_DEP_1)
	v_readfirstlane_b32 s17, v0
	s_cselect_b32 s2, s28, s30
	v_cmpx_lt_i32_e64 v8, v9
	s_cbranch_execz .LBB10_44
; %bb.27:
	s_mul_f32 s17, s17, 0x4f7ffffe
	s_sub_co_i32 s27, 0, s16
	s_mul_i32 s28, s3, s4
	s_add_co_i32 s18, s7, s16
	s_cvt_u32_f32 s17, s17
	s_sub_co_i32 s31, s0, s28
	s_add_co_i32 s30, s3, 1
	s_add_co_i32 s18, s18, -1
	s_mul_i32 s27, s27, s17
	s_sub_co_i32 s33, s31, s4
	s_mul_hi_u32 s27, s17, s27
	s_mov_b32 s29, s19
	s_add_co_i32 s28, s17, s27
	s_cmp_ge_u32 s31, s4
	s_mul_u64 s[28:29], s[18:19], s[28:29]
	s_cselect_b32 s3, s30, s3
	s_cselect_b32 s17, s33, s31
	s_add_co_i32 s27, s3, 1
	s_cmp_ge_u32 s17, s4
	s_mul_i32 s17, s6, s5
	s_cselect_b32 s3, s27, s3
	s_mul_i32 s17, s17, s7
	s_mul_i32 s4, s3, s4
	v_mul_lo_u32 v0, s11, v18
	s_sub_co_i32 s0, s0, s4
	s_mul_i32 s4, s29, s16
	s_mul_i32 s30, s17, s0
	;; [unrolled: 1-line block ×3, first 2 shown]
	s_ashr_i32 s31, s30, 31
	s_ashr_i32 s35, s34, 31
	s_sub_co_i32 s0, s18, s4
	s_lshl_b64 s[30:31], s[30:31], 1
	s_lshl_b64 s[34:35], s[34:35], 1
	s_add_co_i32 s4, s29, 1
	s_sub_co_i32 s11, s0, s16
	s_cmp_ge_u32 s0, s16
	v_mul_lo_u32 v0, v0, s26
	s_cselect_b32 s4, s4, s29
	s_cselect_b32 s0, s11, s0
	s_add_co_i32 s11, s4, 1
	s_cmp_ge_u32 s0, s16
	v_mad_u32 v10, s3, s26, v17
	s_cselect_b32 s0, s11, s4
	s_abs_i32 s4, s6
	v_mad_u32 v11, s0, s2, v16
	s_cvt_f32_u32 s11, s4
	s_delay_alu instid0(VALU_DEP_3) | instskip(SKIP_1) | instid1(SALU_CYCLE_1)
	v_dual_lshlrev_b32 v2, 1, v17 :: v_dual_lshlrev_b32 v0, 1, v0
	s_lshl_b32 s3, s7, 2
	v_rcp_iflag_f32_e32 v1, s11
	s_wait_kmcnt 0x0
	s_add_nc_u64 s[16:17], s[22:23], s[34:35]
	s_lshl_b32 s23, s9, 1
	s_add_co_i32 s9, s3, 0
	s_lshl_b32 s18, s7, 3
	s_mul_i32 s12, s10, s26
	v_add_min_i32_e64 v12, v11, s0, s7
	v_readfirstlane_b32 s2, v1
	s_sub_co_i32 s0, 0, s4
	s_add_nc_u64 s[10:11], s[20:21], s[30:31]
	s_add_co_i32 s20, s9, s3
	v_mul_lo_u32 v13, s13, v10
	s_mul_f32 s2, s2, 0x4f7ffffe
	v_add3_u32 v0, v0, s18, v2
	s_lshl_b32 s22, s8, 1
	v_mov_b32_e32 v1, 0
	s_cvt_u32_f32 s2, s2
	s_ashr_i32 s6, s6, 31
	s_add_co_i32 s21, s20, s23
	s_mul_i32 s13, s12, s13
	s_mul_i32 s3, s0, s2
	v_cmp_lt_i32_e64 s0, v11, v12
	s_mul_hi_u32 s3, s2, s3
	v_cmp_gt_i32_e32 vcc_lo, s5, v10
	s_add_co_i32 s18, s2, s3
	s_add_co_i32 s2, s22, 0
	;; [unrolled: 1-line block ×3, first 2 shown]
	v_add3_u32 v14, s2, s23, v0
	s_lshl_b32 s23, s26, 1
	s_mov_b32 s26, s19
	s_branch .LBB10_29
.LBB10_28:                              ;   in Loop: Header=BB10_29 Depth=1
	s_or_b32 exec_lo, exec_lo, s27
	v_add_nc_u32_e32 v8, s25, v8
	s_delay_alu instid0(VALU_DEP_1) | instskip(SKIP_1) | instid1(SALU_CYCLE_1)
	v_cmp_ge_i32_e64 s1, v8, v9
	s_or_b32 s26, s1, s26
	s_and_not1_b32 exec_lo, exec_lo, s26
	s_cbranch_execz .LBB10_44
.LBB10_29:                              ; =>This Loop Header: Depth=1
                                        ;     Child Loop BB10_32 Depth 2
                                        ;       Child Loop BB10_35 Depth 3
                                        ;         Child Loop BB10_38 Depth 4
                                        ;           Child Loop BB10_40 Depth 5
                                        ;       Child Loop BB10_43 Depth 3
	s_and_saveexec_b32 s27, s0
	s_cbranch_execz .LBB10_28
; %bb.30:                               ;   in Loop: Header=BB10_29 Depth=1
	v_mul_lo_u32 v6, v8, s8
	v_mov_b32_e32 v17, v11
	s_mov_b32 s28, 0
	s_delay_alu instid0(VALU_DEP_2) | instskip(NEXT) | instid1(VALU_DEP_1)
	v_dual_sub_nc_u32 v0, 0, v6 :: v_dual_add_nc_u32 v7, s22, v6
	v_dual_sub_nc_u32 v4, 0, v7 :: v_dual_max_i32 v0, v6, v0
	s_delay_alu instid0(VALU_DEP_1) | instskip(NEXT) | instid1(VALU_DEP_1)
	v_mul_u64_e32 v[2:3], s[18:19], v[0:1]
	v_dual_ashrrev_i32 v6, 31, v6 :: v_dual_add_nc_u32 v15, 1, v3
	v_mul_lo_u32 v2, v3, s4
	s_delay_alu instid0(VALU_DEP_1) | instskip(NEXT) | instid1(VALU_DEP_1)
	v_dual_sub_nc_u32 v2, v0, v2 :: v_dual_max_i32 v0, v7, v4
	v_cmp_le_u32_e64 s1, s4, v2
	s_delay_alu instid0(VALU_DEP_2) | instskip(NEXT) | instid1(VALU_DEP_2)
	v_mul_u64_e32 v[4:5], s[18:19], v[0:1]
	v_cndmask_b32_e64 v3, v3, v15, s1
	v_subrev_nc_u32_e32 v15, s4, v2
	s_delay_alu instid0(VALU_DEP_3) | instskip(NEXT) | instid1(VALU_DEP_1)
	v_mul_lo_u32 v4, v5, s4
	v_dual_sub_nc_u32 v0, v0, v4 :: v_dual_bitop2_b32 v6, s6, v6 bitop3:0x14
	v_add_nc_u32_e32 v4, 1, v5
	s_delay_alu instid0(VALU_DEP_2) | instskip(SKIP_1) | instid1(VALU_DEP_1)
	v_subrev_nc_u32_e32 v16, s4, v0
	v_cmp_le_u32_e64 s2, s4, v0
	v_dual_cndmask_b32 v2, v2, v15, s1 :: v_dual_cndmask_b32 v0, v0, v16, s2
	s_delay_alu instid0(VALU_DEP_4) | instskip(SKIP_1) | instid1(VALU_DEP_3)
	v_dual_cndmask_b32 v4, v5, v4, s2 :: v_dual_ashrrev_i32 v5, 31, v7
	v_add_nc_u32_e32 v7, 1, v3
	v_cmp_le_u32_e64 s1, s4, v2
	s_delay_alu instid0(VALU_DEP_3) | instskip(NEXT) | instid1(VALU_DEP_2)
	v_dual_add_nc_u32 v15, 1, v4 :: v_dual_bitop2_b32 v5, s6, v5 bitop3:0x14
	v_cndmask_b32_e64 v2, v3, v7, s1
	v_cmp_le_u32_e64 s1, s4, v0
	s_delay_alu instid0(VALU_DEP_1) | instskip(NEXT) | instid1(VALU_DEP_1)
	v_dual_cndmask_b32 v0, v4, v15, s1 :: v_dual_bitop2_b32 v2, v2, v6 bitop3:0x14
	v_dual_sub_nc_u32 v15, v2, v6 :: v_dual_bitop2_b32 v3, v0, v5 bitop3:0x14
	v_mul_lo_u32 v0, v8, s7
	s_delay_alu instid0(VALU_DEP_2) | instskip(NEXT) | instid1(VALU_DEP_1)
	v_sub_nc_u32_e32 v16, v3, v5
	v_cmp_lt_i32_e64 s1, v15, v16
	s_branch .LBB10_32
.LBB10_31:                              ;   in Loop: Header=BB10_32 Depth=2
	s_or_b32 exec_lo, exec_lo, s3
	v_add_nc_u32_e32 v17, s24, v17
	s_delay_alu instid0(VALU_DEP_1) | instskip(SKIP_1) | instid1(SALU_CYCLE_1)
	v_cmp_ge_i32_e64 s2, v17, v12
	s_or_b32 s28, s2, s28
	s_and_not1_b32 exec_lo, exec_lo, s28
	s_cbranch_execz .LBB10_28
.LBB10_32:                              ;   Parent Loop BB10_29 Depth=1
                                        ; =>  This Loop Header: Depth=2
                                        ;       Child Loop BB10_35 Depth 3
                                        ;         Child Loop BB10_38 Depth 4
                                        ;           Child Loop BB10_40 Depth 5
                                        ;       Child Loop BB10_43 Depth 3
	s_delay_alu instid0(VALU_DEP_1)
	s_and_saveexec_b32 s29, s1
	s_cbranch_execz .LBB10_41
; %bb.33:                               ;   in Loop: Header=BB10_32 Depth=2
	v_dual_lshlrev_b32 v2, 2, v17 :: v_dual_mov_b32 v20, v15
	s_mov_b32 s30, 0
	s_delay_alu instid0(VALU_DEP_1)
	v_dual_add_nc_u32 v3, 0, v2 :: v_dual_add_nc_u32 v2, s9, v2
	ds_load_b32 v18, v3
	ds_load_b32 v19, v2
	s_wait_dscnt 0x0
	v_cmp_lt_i32_e64 s2, v18, v19
	s_branch .LBB10_35
.LBB10_34:                              ;   in Loop: Header=BB10_35 Depth=3
	s_or_b32 exec_lo, exec_lo, s31
	v_add_nc_u32_e32 v20, 1, v20
	s_delay_alu instid0(VALU_DEP_1) | instskip(SKIP_1) | instid1(SALU_CYCLE_1)
	v_cmp_ge_i32_e64 s3, v20, v16
	s_or_b32 s30, s3, s30
	s_and_not1_b32 exec_lo, exec_lo, s30
	s_cbranch_execz .LBB10_41
.LBB10_35:                              ;   Parent Loop BB10_29 Depth=1
                                        ;     Parent Loop BB10_32 Depth=2
                                        ; =>    This Loop Header: Depth=3
                                        ;         Child Loop BB10_38 Depth 4
                                        ;           Child Loop BB10_40 Depth 5
	s_delay_alu instid0(VALU_DEP_1)
	s_and_saveexec_b32 s31, s2
	s_cbranch_execz .LBB10_34
; %bb.36:                               ;   in Loop: Header=BB10_35 Depth=3
	v_mul_lo_u32 v2, v20, s14
	v_lshl_add_u32 v21, v20, 1, s21
	s_mov_b32 s33, 0
	s_delay_alu instid0(VALU_DEP_2) | instskip(NEXT) | instid1(VALU_DEP_1)
	v_dual_mov_b32 v22, v18 :: v_dual_ashrrev_i32 v3, 31, v2
	v_lshl_add_u64 v[2:3], v[2:3], 1, s[16:17]
	s_branch .LBB10_38
.LBB10_37:                              ;   in Loop: Header=BB10_38 Depth=4
	s_or_b32 exec_lo, exec_lo, s34
	v_add_nc_u32_e32 v22, 1, v22
	s_delay_alu instid0(VALU_DEP_1) | instskip(SKIP_1) | instid1(SALU_CYCLE_1)
	v_cmp_ge_i32_e64 s3, v22, v19
	s_or_b32 s33, s3, s33
	s_and_not1_b32 exec_lo, exec_lo, s33
	s_cbranch_execz .LBB10_34
.LBB10_38:                              ;   Parent Loop BB10_29 Depth=1
                                        ;     Parent Loop BB10_32 Depth=2
                                        ;       Parent Loop BB10_35 Depth=3
                                        ; =>      This Loop Header: Depth=4
                                        ;           Child Loop BB10_40 Depth 5
	s_and_saveexec_b32 s34, vcc_lo
	s_cbranch_execz .LBB10_37
; %bb.39:                               ;   in Loop: Header=BB10_38 Depth=4
	v_lshl_add_u32 v4, v22, 1, s20
	v_mul_lo_u32 v6, v22, s15
	s_mov_b32 s35, 0
	ds_load_u16 v5, v4
	ds_load_u16 v24, v21
	v_dual_mov_b32 v4, v13 :: v_dual_mov_b32 v25, v10
	v_dual_mov_b32 v23, v14 :: v_dual_ashrrev_i32 v7, 31, v6
	s_delay_alu instid0(VALU_DEP_1)
	v_lshl_add_u64 v[6:7], v[6:7], 1, v[2:3]
	s_wait_dscnt 0x0
	v_mul_f16_e32 v24, v5, v24
.LBB10_40:                              ;   Parent Loop BB10_29 Depth=1
                                        ;     Parent Loop BB10_32 Depth=2
                                        ;       Parent Loop BB10_35 Depth=3
                                        ;         Parent Loop BB10_38 Depth=4
                                        ; =>        This Inner Loop Header: Depth=5
	v_dual_ashrrev_i32 v5, 31, v4 :: v_dual_add_nc_u32 v25, s12, v25
	s_delay_alu instid0(VALU_DEP_1) | instskip(NEXT) | instid1(VALU_DEP_2)
	v_lshl_add_u64 v[26:27], v[4:5], 1, v[6:7]
	v_cmp_le_i32_e64 s3, s5, v25
	v_add_nc_u32_e32 v4, s13, v4
	global_load_u16 v5, v[26:27], off
	s_wait_xcnt 0x0
	ds_load_u16 v26, v23
	s_or_b32 s35, s3, s35
	s_wait_loadcnt_dscnt 0x0
	v_fmac_f16_e32 v26, v24, v5
	ds_store_b16 v23, v26
	v_add_nc_u32_e32 v23, s23, v23
	s_and_not1_b32 exec_lo, exec_lo, s35
	s_cbranch_execnz .LBB10_40
	s_branch .LBB10_37
.LBB10_41:                              ;   in Loop: Header=BB10_32 Depth=2
	s_or_b32 exec_lo, exec_lo, s29
	s_and_saveexec_b32 s3, vcc_lo
	s_cbranch_execz .LBB10_31
; %bb.42:                               ;   in Loop: Header=BB10_32 Depth=2
	s_delay_alu instid0(VALU_DEP_3) | instskip(SKIP_2) | instid1(VALU_DEP_2)
	v_dual_add_nc_u32 v2, v17, v0 :: v_dual_mov_b32 v6, v14
	s_mov_b32 s29, 0
	v_mov_b32_e32 v4, v10
	v_mul_lo_u32 v2, v2, s5
	s_delay_alu instid0(VALU_DEP_1) | instskip(NEXT) | instid1(VALU_DEP_1)
	v_ashrrev_i32_e32 v3, 31, v2
	v_lshl_add_u64 v[2:3], v[2:3], 1, s[10:11]
.LBB10_43:                              ;   Parent Loop BB10_29 Depth=1
                                        ;     Parent Loop BB10_32 Depth=2
                                        ; =>    This Inner Loop Header: Depth=3
	ds_load_u16 v7, v6
	v_ashrrev_i32_e32 v5, 31, v4
	ds_store_b16 v6, v1
	v_add_nc_u32_e32 v6, s23, v6
	v_lshl_add_u64 v[18:19], v[4:5], 1, v[2:3]
	v_add_nc_u32_e32 v4, s12, v4
	s_delay_alu instid0(VALU_DEP_1)
	v_cmp_le_i32_e64 s2, s5, v4
	s_or_b32 s29, s2, s29
	s_wait_dscnt 0x1
	global_store_b16 v[18:19], v7, off
	s_wait_xcnt 0x0
	s_and_not1_b32 exec_lo, exec_lo, s29
	s_cbranch_execnz .LBB10_43
	s_branch .LBB10_31
.LBB10_44:
	s_endpgm
	.section	.rodata,"a",@progbits
	.p2align	6, 0x0
	.amdhsa_kernel _ZN2at6native12_GLOBAL__N_131adaptive_average_gradinput_nhwcIiN3c104HalfEEEvPT0_PKS5_iiiiiiiiT_S9_S9_S9_
		.amdhsa_group_segment_fixed_size 0
		.amdhsa_private_segment_fixed_size 0
		.amdhsa_kernarg_size 320
		.amdhsa_user_sgpr_count 2
		.amdhsa_user_sgpr_dispatch_ptr 0
		.amdhsa_user_sgpr_queue_ptr 0
		.amdhsa_user_sgpr_kernarg_segment_ptr 1
		.amdhsa_user_sgpr_dispatch_id 0
		.amdhsa_user_sgpr_kernarg_preload_length 0
		.amdhsa_user_sgpr_kernarg_preload_offset 0
		.amdhsa_user_sgpr_private_segment_size 0
		.amdhsa_wavefront_size32 1
		.amdhsa_uses_dynamic_stack 0
		.amdhsa_enable_private_segment 0
		.amdhsa_system_sgpr_workgroup_id_x 1
		.amdhsa_system_sgpr_workgroup_id_y 1
		.amdhsa_system_sgpr_workgroup_id_z 1
		.amdhsa_system_sgpr_workgroup_info 0
		.amdhsa_system_vgpr_workitem_id 2
		.amdhsa_next_free_vgpr 46
		.amdhsa_next_free_sgpr 48
		.amdhsa_named_barrier_count 0
		.amdhsa_reserve_vcc 1
		.amdhsa_float_round_mode_32 0
		.amdhsa_float_round_mode_16_64 0
		.amdhsa_float_denorm_mode_32 3
		.amdhsa_float_denorm_mode_16_64 3
		.amdhsa_fp16_overflow 0
		.amdhsa_memory_ordered 1
		.amdhsa_forward_progress 1
		.amdhsa_inst_pref_size 51
		.amdhsa_round_robin_scheduling 0
		.amdhsa_exception_fp_ieee_invalid_op 0
		.amdhsa_exception_fp_denorm_src 0
		.amdhsa_exception_fp_ieee_div_zero 0
		.amdhsa_exception_fp_ieee_overflow 0
		.amdhsa_exception_fp_ieee_underflow 0
		.amdhsa_exception_fp_ieee_inexact 0
		.amdhsa_exception_int_div_zero 0
	.end_amdhsa_kernel
	.section	.text._ZN2at6native12_GLOBAL__N_131adaptive_average_gradinput_nhwcIiN3c104HalfEEEvPT0_PKS5_iiiiiiiiT_S9_S9_S9_,"axG",@progbits,_ZN2at6native12_GLOBAL__N_131adaptive_average_gradinput_nhwcIiN3c104HalfEEEvPT0_PKS5_iiiiiiiiT_S9_S9_S9_,comdat
.Lfunc_end10:
	.size	_ZN2at6native12_GLOBAL__N_131adaptive_average_gradinput_nhwcIiN3c104HalfEEEvPT0_PKS5_iiiiiiiiT_S9_S9_S9_, .Lfunc_end10-_ZN2at6native12_GLOBAL__N_131adaptive_average_gradinput_nhwcIiN3c104HalfEEEvPT0_PKS5_iiiiiiiiT_S9_S9_S9_
                                        ; -- End function
	.set _ZN2at6native12_GLOBAL__N_131adaptive_average_gradinput_nhwcIiN3c104HalfEEEvPT0_PKS5_iiiiiiiiT_S9_S9_S9_.num_vgpr, 46
	.set _ZN2at6native12_GLOBAL__N_131adaptive_average_gradinput_nhwcIiN3c104HalfEEEvPT0_PKS5_iiiiiiiiT_S9_S9_S9_.num_agpr, 0
	.set _ZN2at6native12_GLOBAL__N_131adaptive_average_gradinput_nhwcIiN3c104HalfEEEvPT0_PKS5_iiiiiiiiT_S9_S9_S9_.numbered_sgpr, 48
	.set _ZN2at6native12_GLOBAL__N_131adaptive_average_gradinput_nhwcIiN3c104HalfEEEvPT0_PKS5_iiiiiiiiT_S9_S9_S9_.num_named_barrier, 0
	.set _ZN2at6native12_GLOBAL__N_131adaptive_average_gradinput_nhwcIiN3c104HalfEEEvPT0_PKS5_iiiiiiiiT_S9_S9_S9_.private_seg_size, 0
	.set _ZN2at6native12_GLOBAL__N_131adaptive_average_gradinput_nhwcIiN3c104HalfEEEvPT0_PKS5_iiiiiiiiT_S9_S9_S9_.uses_vcc, 1
	.set _ZN2at6native12_GLOBAL__N_131adaptive_average_gradinput_nhwcIiN3c104HalfEEEvPT0_PKS5_iiiiiiiiT_S9_S9_S9_.uses_flat_scratch, 0
	.set _ZN2at6native12_GLOBAL__N_131adaptive_average_gradinput_nhwcIiN3c104HalfEEEvPT0_PKS5_iiiiiiiiT_S9_S9_S9_.has_dyn_sized_stack, 0
	.set _ZN2at6native12_GLOBAL__N_131adaptive_average_gradinput_nhwcIiN3c104HalfEEEvPT0_PKS5_iiiiiiiiT_S9_S9_S9_.has_recursion, 0
	.set _ZN2at6native12_GLOBAL__N_131adaptive_average_gradinput_nhwcIiN3c104HalfEEEvPT0_PKS5_iiiiiiiiT_S9_S9_S9_.has_indirect_call, 0
	.section	.AMDGPU.csdata,"",@progbits
; Kernel info:
; codeLenInByte = 6452
; TotalNumSgprs: 50
; NumVgprs: 46
; ScratchSize: 0
; MemoryBound: 0
; FloatMode: 240
; IeeeMode: 1
; LDSByteSize: 0 bytes/workgroup (compile time only)
; SGPRBlocks: 0
; VGPRBlocks: 2
; NumSGPRsForWavesPerEU: 50
; NumVGPRsForWavesPerEU: 46
; NamedBarCnt: 0
; Occupancy: 16
; WaveLimiterHint : 0
; COMPUTE_PGM_RSRC2:SCRATCH_EN: 0
; COMPUTE_PGM_RSRC2:USER_SGPR: 2
; COMPUTE_PGM_RSRC2:TRAP_HANDLER: 0
; COMPUTE_PGM_RSRC2:TGID_X_EN: 1
; COMPUTE_PGM_RSRC2:TGID_Y_EN: 1
; COMPUTE_PGM_RSRC2:TGID_Z_EN: 1
; COMPUTE_PGM_RSRC2:TIDIG_COMP_CNT: 2
	.section	.text._ZN2at6native12_GLOBAL__N_131adaptive_average_gradinput_nhwcIiN3c108BFloat16EEEvPT0_PKS5_iiiiiiiiT_S9_S9_S9_,"axG",@progbits,_ZN2at6native12_GLOBAL__N_131adaptive_average_gradinput_nhwcIiN3c108BFloat16EEEvPT0_PKS5_iiiiiiiiT_S9_S9_S9_,comdat
	.globl	_ZN2at6native12_GLOBAL__N_131adaptive_average_gradinput_nhwcIiN3c108BFloat16EEEvPT0_PKS5_iiiiiiiiT_S9_S9_S9_ ; -- Begin function _ZN2at6native12_GLOBAL__N_131adaptive_average_gradinput_nhwcIiN3c108BFloat16EEEvPT0_PKS5_iiiiiiiiT_S9_S9_S9_
	.p2align	8
	.type	_ZN2at6native12_GLOBAL__N_131adaptive_average_gradinput_nhwcIiN3c108BFloat16EEEvPT0_PKS5_iiiiiiiiT_S9_S9_S9_,@function
_ZN2at6native12_GLOBAL__N_131adaptive_average_gradinput_nhwcIiN3c108BFloat16EEEvPT0_PKS5_iiiiiiiiT_S9_S9_S9_: ; @_ZN2at6native12_GLOBAL__N_131adaptive_average_gradinput_nhwcIiN3c108BFloat16EEEvPT0_PKS5_iiiiiiiiT_S9_S9_S9_
; %bb.0:
	s_clause 0x1
	s_load_b128 s[16:19], s[0:1], 0x44
	s_load_b128 s[12:15], s[0:1], 0x30
	v_bfe_u32 v8, v0, 10, 10
	v_bfe_u32 v11, v0, 20, 10
	s_load_b256 s[4:11], s[0:1], 0x10
	v_and_b32_e32 v9, 0x3ff, v0
	s_mov_b32 s3, exec_lo
	s_wait_kmcnt 0x0
	s_lshr_b32 s24, s18, 16
	s_and_b32 s26, s18, 0xffff
	v_mad_u32_u24 v10, v11, s24, v8
	s_and_b32 s25, s19, 0xffff
	s_mul_i32 s27, s24, s26
	s_delay_alu instid0(SALU_CYCLE_1) | instskip(NEXT) | instid1(VALU_DEP_1)
	s_mul_i32 s27, s27, s25
	v_mad_u32 v0, v10, s26, v9
	s_delay_alu instid0(VALU_DEP_1)
	v_cmpx_gt_i32_e64 s7, v0
	s_cbranch_execz .LBB11_3
; %bb.1:
	s_abs_i32 s20, s7
	s_mul_i32 s28, s9, s24
	s_cvt_f32_u32 s2, s20
	s_sub_co_i32 s29, 0, s20
	v_lshl_add_u32 v4, v0, 2, 0
	v_dual_mov_b32 v3, 0 :: v_dual_mov_b32 v5, v0
	v_rcp_iflag_f32_e32 v1, s2
	s_add_co_i32 s2, s7, s9
	s_mov_b32 s19, 0
	s_mul_i32 s30, s28, s26
	s_ashr_i32 s21, s7, 31
	s_lshl_b32 s22, s27, 2
	s_lshl_b32 s23, s7, 2
	v_nop
	v_readfirstlane_b32 s18, v1
	v_mul_lo_u32 v1, s9, v0
	s_mov_b32 s28, s19
	s_mul_f32 s18, s18, 0x4f7ffffe
	s_delay_alu instid0(SALU_CYCLE_3) | instskip(NEXT) | instid1(VALU_DEP_1)
	s_cvt_u32_f32 s18, s18
	v_add3_u32 v6, s2, v1, -1
	s_delay_alu instid0(SALU_CYCLE_2) | instskip(NEXT) | instid1(SALU_CYCLE_1)
	s_mul_i32 s29, s29, s18
	s_mul_hi_u32 s2, s18, s29
	s_mul_i32 s29, s30, s25
	s_add_co_i32 s18, s18, s2
	s_mov_b32 s30, s19
.LBB11_2:                               ; =>This Inner Loop Header: Depth=1
	s_delay_alu instid0(SALU_CYCLE_1) | instskip(SKIP_1) | instid1(VALU_DEP_1)
	v_dual_add_nc_u32 v7, s30, v1 :: v_dual_add_nc_u32 v16, s30, v6
	s_add_co_i32 s30, s30, s29
	v_dual_add_nc_u32 v5, s27, v5 :: v_dual_sub_nc_u32 v2, 0, v7
	s_delay_alu instid0(VALU_DEP_1) | instskip(SKIP_1) | instid1(VALU_DEP_2)
	v_dual_sub_nc_u32 v14, 0, v16 :: v_dual_max_i32 v2, v7, v2
	v_ashrrev_i32_e32 v7, 31, v7
	v_mul_u64_e32 v[12:13], s[18:19], v[2:3]
	s_delay_alu instid0(VALU_DEP_2) | instskip(NEXT) | instid1(VALU_DEP_2)
	v_xor_b32_e32 v7, s21, v7
	v_mul_lo_u32 v12, v13, s20
	s_delay_alu instid0(VALU_DEP_1) | instskip(NEXT) | instid1(VALU_DEP_1)
	v_dual_sub_nc_u32 v12, v2, v12 :: v_dual_max_i32 v2, v16, v14
	v_cmp_le_u32_e32 vcc_lo, s20, v12
	s_delay_alu instid0(VALU_DEP_2) | instskip(SKIP_2) | instid1(VALU_DEP_2)
	v_mul_u64_e32 v[14:15], s[18:19], v[2:3]
	v_dual_ashrrev_i32 v14, 31, v16 :: v_dual_add_nc_u32 v16, 1, v13
	v_subrev_nc_u32_e32 v17, s20, v12
	v_dual_cndmask_b32 v13, v13, v16, vcc_lo :: v_dual_bitop2_b32 v14, s21, v14 bitop3:0x14
	s_delay_alu instid0(VALU_DEP_2) | instskip(NEXT) | instid1(VALU_DEP_2)
	v_cndmask_b32_e32 v12, v12, v17, vcc_lo
	v_add_nc_u32_e32 v16, 1, v13
	s_delay_alu instid0(VALU_DEP_2) | instskip(SKIP_1) | instid1(VALU_DEP_2)
	v_cmp_le_u32_e64 s2, s20, v12
	v_mul_lo_u32 v18, v15, s20
	v_dual_add_nc_u32 v17, 1, v15 :: v_dual_cndmask_b32 v13, v13, v16, s2
	s_delay_alu instid0(VALU_DEP_2) | instskip(NEXT) | instid1(VALU_DEP_1)
	v_sub_nc_u32_e32 v2, v2, v18
	v_cmp_le_u32_e32 vcc_lo, s20, v2
	s_delay_alu instid0(VALU_DEP_3) | instskip(SKIP_1) | instid1(VALU_DEP_1)
	v_cndmask_b32_e32 v15, v15, v17, vcc_lo
	v_subrev_nc_u32_e32 v18, s20, v2
	v_dual_add_nc_u32 v12, 1, v15 :: v_dual_cndmask_b32 v2, v2, v18, vcc_lo
	s_delay_alu instid0(VALU_DEP_1) | instskip(NEXT) | instid1(VALU_DEP_2)
	v_cmp_le_u32_e32 vcc_lo, s20, v2
	v_dual_cndmask_b32 v2, v15, v12, vcc_lo :: v_dual_bitop2_b32 v12, v13, v7 bitop3:0x14
	v_cmp_le_i32_e32 vcc_lo, s7, v5
	s_delay_alu instid0(VALU_DEP_2) | instskip(SKIP_2) | instid1(VALU_DEP_2)
	v_dual_sub_nc_u32 v7, v12, v7 :: v_dual_bitop2_b32 v2, v2, v14 bitop3:0x14
	v_add_nc_u32_e32 v12, s23, v4
	s_or_b32 s28, vcc_lo, s28
	v_sub_nc_u32_e32 v2, v2, v14
	ds_store_b32 v4, v7
	v_add_nc_u32_e32 v4, s22, v4
	ds_store_b32 v12, v2
	s_and_not1_b32 exec_lo, exec_lo, s28
	s_cbranch_execnz .LBB11_2
.LBB11_3:
	s_or_b32 exec_lo, exec_lo, s3
	s_load_b128 s[20:23], s[0:1], 0x0
	s_wait_xcnt 0x0
	s_cvt_f32_u32 s0, s27
	v_add_nc_u32_e32 v1, s25, v11
	s_mov_b32 s28, exec_lo
	s_delay_alu instid0(SALU_CYCLE_1) | instskip(NEXT) | instid1(VALU_DEP_1)
	v_rcp_iflag_f32_e32 v12, s0
	v_mad_u32_u24 v13, v1, s24, v8
	v_cmpx_gt_i32_e64 s8, v0
	s_cbranch_execz .LBB11_13
; %bb.4:
	s_delay_alu instid0(VALU_DEP_2) | instskip(NEXT) | instid1(TRANS32_DEP_1)
	v_mul_lo_u32 v1, v13, s26
	v_readfirstlane_b32 s0, v12
	s_sub_co_i32 s1, 0, s27
                                        ; implicit-def: $vgpr7
                                        ; implicit-def: $vgpr6
                                        ; implicit-def: $sgpr18_sgpr19
                                        ; implicit-def: $vgpr5
                                        ; implicit-def: $vgpr15
	s_mul_f32 s0, s0, 0x4f7ffffe
	s_delay_alu instid0(SALU_CYCLE_3) | instskip(SKIP_1) | instid1(SALU_CYCLE_2)
	s_cvt_u32_f32 s0, s0
	v_add_nc_u32_e32 v2, v9, v1
	s_mul_i32 s1, s1, s0
	s_delay_alu instid0(SALU_CYCLE_1) | instskip(NEXT) | instid1(VALU_DEP_1)
	s_mul_hi_u32 s1, s0, s1
	v_cmp_gt_i32_e32 vcc_lo, s8, v2
	v_max_i32_e32 v3, s8, v2
	s_add_co_i32 s0, s0, s1
	s_mov_b32 s1, exec_lo
	v_add_co_ci_u32_e64 v1, null, v9, v1, vcc_lo
	s_delay_alu instid0(VALU_DEP_1) | instskip(NEXT) | instid1(VALU_DEP_1)
	v_sub_nc_u32_e32 v1, v3, v1
	v_mul_hi_u32 v2, v1, s0
	s_delay_alu instid0(VALU_DEP_1) | instskip(NEXT) | instid1(VALU_DEP_1)
	v_mul_lo_u32 v3, v2, s27
	v_dual_sub_nc_u32 v1, v1, v3 :: v_dual_add_nc_u32 v3, 1, v2
	s_delay_alu instid0(VALU_DEP_1) | instskip(SKIP_1) | instid1(VALU_DEP_1)
	v_subrev_nc_u32_e32 v4, s27, v1
	v_cmp_le_u32_e64 s0, s27, v1
	v_dual_cndmask_b32 v2, v2, v3, s0 :: v_dual_cndmask_b32 v1, v1, v4, s0
                                        ; implicit-def: $vgpr4
	s_delay_alu instid0(VALU_DEP_1) | instskip(NEXT) | instid1(VALU_DEP_2)
	v_add_nc_u32_e32 v3, 1, v2
	v_cmp_le_u32_e64 s0, s27, v1
	s_delay_alu instid0(VALU_DEP_1) | instskip(SKIP_1) | instid1(VALU_DEP_1)
	v_cndmask_b32_e64 v1, v2, v3, s0
	s_mov_b32 s0, 0
	v_add_co_ci_u32_e64 v14, null, 1, v1, vcc_lo
                                        ; implicit-def: $vgpr1
	s_delay_alu instid0(VALU_DEP_1)
	v_cmpx_lt_u32_e32 3, v14
	s_xor_b32 s29, exec_lo, s1
	s_cbranch_execnz .LBB11_7
; %bb.5:
	s_or_saveexec_b32 s1, s29
	v_mov_b64_e32 v[2:3], s[18:19]
	s_xor_b32 exec_lo, exec_lo, s1
	s_cbranch_execnz .LBB11_10
.LBB11_6:
	s_or_b32 exec_lo, exec_lo, s1
	s_delay_alu instid0(SALU_CYCLE_1)
	s_and_b32 exec_lo, exec_lo, s0
	s_cbranch_execnz .LBB11_11
	s_branch .LBB11_13
.LBB11_7:
	s_abs_i32 s31, s8
	v_mad_u32 v3, s27, 3, v0
	s_cvt_f32_u32 s0, s31
	s_lshl_b32 s38, s27, 1
	v_dual_add_nc_u32 v1, s27, v0 :: v_dual_bitop2_b32 v15, -4, v14 bitop3:0x40
	s_delay_alu instid0(SALU_CYCLE_1)
	v_rcp_iflag_f32_e32 v2, s0
	s_lshl_b32 s47, s7, 3
	s_lshl_b32 s48, s9, 1
	s_sub_co_i32 s1, 0, s31
	s_add_co_i32 s2, s47, s48
	v_dual_mov_b32 v7, 0 :: v_dual_mov_b32 v17, v15
	s_delay_alu instid0(TRANS32_DEP_1)
	v_readfirstlane_b32 s0, v2
	v_dual_add_nc_u32 v2, s38, v0 :: v_dual_lshlrev_b32 v4, 1, v0
	s_add_co_i32 s30, s8, -1
	s_lshl_b32 s42, s27, 2
	s_mul_f32 s0, s0, 0x4f7ffffe
	s_mov_b32 s19, 0
	v_add3_u32 v16, 0, s2, v4
	v_mov_b64_e32 v[4:5], v[2:3]
	s_cvt_u32_f32 s0, s0
	v_mov_b64_e32 v[2:3], v[0:1]
	s_mov_b32 s33, s30
	s_mov_b32 s34, s30
	s_mul_i32 s1, s1, s0
	s_mov_b32 s35, s30
	s_mul_hi_u32 s1, s0, s1
	s_mov_b32 s36, s6
	s_mov_b32 s37, s6
	;; [unrolled: 1-line block ×7, first 2 shown]
	s_mul_i32 s46, s27, 6
	s_ashr_i32 s41, s8, 31
	s_add_co_i32 s18, s0, s1
	s_lshl_b32 s50, s27, 3
	s_mov_b32 s49, s19
.LBB11_8:                               ; =>This Inner Loop Header: Depth=1
	v_mul_lo_u32 v20, v2, s36
	v_mul_lo_u32 v1, v5, s40
	;; [unrolled: 1-line block ×4, first 2 shown]
	v_dual_add_nc_u32 v28, s46, v16 :: v_dual_add_nc_u32 v17, -4, v17
	v_dual_add_nc_u32 v26, s38, v16 :: v_dual_add_nc_u32 v27, s42, v16
	v_dual_add_nc_u32 v5, s45, v5 :: v_dual_add_nc_u32 v4, s44, v4
	s_delay_alu instid0(VALU_DEP_3) | instskip(SKIP_4) | instid1(VALU_DEP_4)
	v_cmp_eq_u32_e64 s0, 0, v17
	v_add3_u32 v6, s30, s36, v20
	v_add3_u32 v21, s35, s40, v1
	;; [unrolled: 1-line block ×3, first 2 shown]
	v_dual_ashrrev_i32 v33, 31, v18 :: v_dual_sub_nc_u32 v34, 0, v18
	v_dual_ashrrev_i32 v37, 31, v6 :: v_dual_sub_nc_u32 v22, 0, v6
	s_delay_alu instid0(VALU_DEP_3) | instskip(SKIP_1) | instid1(VALU_DEP_3)
	v_dual_ashrrev_i32 v38, 31, v24 :: v_dual_sub_nc_u32 v39, 0, v24
	v_dual_ashrrev_i32 v25, 31, v20 :: v_dual_sub_nc_u32 v30, 0, v20
	v_dual_ashrrev_i32 v35, 31, v1 :: v_dual_max_i32 v6, v6, v22
	v_sub_nc_u32_e32 v36, 0, v1
	v_add3_u32 v29, s34, s39, v18
	v_dual_ashrrev_i32 v31, 31, v19 :: v_dual_sub_nc_u32 v32, 0, v19
	s_delay_alu instid0(VALU_DEP_4) | instskip(SKIP_4) | instid1(VALU_DEP_4)
	v_mul_u64_e32 v[22:23], s[18:19], v[6:7]
	v_ashrrev_i32_e32 v22, 31, v21
	v_xor_b32_e32 v43, s41, v25
	v_dual_ashrrev_i32 v40, 31, v29 :: v_dual_sub_nc_u32 v41, 0, v29
	v_dual_sub_nc_u32 v42, 0, v21 :: v_dual_bitop2_b32 v31, s41, v31 bitop3:0x14
	v_dual_add_nc_u32 v3, s43, v3 :: v_dual_bitop2_b32 v44, s41, v22 bitop3:0x14
	v_add_nc_u32_e32 v2, s42, v2
	s_or_b32 s49, s0, s49
	v_mul_lo_u32 v22, v23, s31
	v_dual_add_nc_u32 v45, 1, v23 :: v_dual_bitop2_b32 v33, s41, v33 bitop3:0x14
	s_delay_alu instid0(VALU_DEP_2) | instskip(NEXT) | instid1(VALU_DEP_1)
	v_dual_sub_nc_u32 v22, v6, v22 :: v_dual_max_i32 v6, v24, v39
	v_cmp_le_u32_e32 vcc_lo, s31, v22
	s_delay_alu instid0(VALU_DEP_2) | instskip(SKIP_4) | instid1(VALU_DEP_1)
	v_mul_u64_e32 v[24:25], s[18:19], v[6:7]
	v_subrev_nc_u32_e32 v24, s31, v22
	v_xor_b32_e32 v35, s41, v35
	v_xor_b32_e32 v37, s41, v37
	v_dual_cndmask_b32 v23, v23, v45, vcc_lo :: v_dual_bitop2_b32 v38, s41, v38 bitop3:0x14
	v_dual_cndmask_b32 v22, v22, v24, vcc_lo :: v_dual_add_nc_u32 v24, 1, v23
	s_delay_alu instid0(VALU_DEP_1) | instskip(NEXT) | instid1(VALU_DEP_2)
	v_cmp_le_u32_e32 vcc_lo, s31, v22
	v_dual_cndmask_b32 v22, v23, v24, vcc_lo :: v_dual_add_nc_u32 v24, 1, v25
	s_delay_alu instid0(VALU_DEP_1) | instskip(NEXT) | instid1(VALU_DEP_1)
	v_xor_b32_e32 v22, v22, v37
	v_dual_sub_nc_u32 v37, v22, v37 :: v_dual_bitop2_b32 v40, s41, v40 bitop3:0x14
	v_mul_lo_u32 v22, v25, s31
	s_delay_alu instid0(VALU_DEP_1) | instskip(NEXT) | instid1(VALU_DEP_1)
	v_dual_sub_nc_u32 v39, v6, v22 :: v_dual_max_i32 v6, v29, v41
	v_cmp_le_u32_e32 vcc_lo, s31, v39
	s_delay_alu instid0(VALU_DEP_2) | instskip(SKIP_1) | instid1(VALU_DEP_1)
	v_mul_u64_e32 v[22:23], s[18:19], v[6:7]
	v_subrev_nc_u32_e32 v22, s31, v39
	v_dual_cndmask_b32 v24, v25, v24, vcc_lo :: v_dual_cndmask_b32 v22, v39, v22, vcc_lo
	s_delay_alu instid0(VALU_DEP_1) | instskip(NEXT) | instid1(VALU_DEP_2)
	v_add_nc_u32_e32 v25, 1, v24
	v_cmp_le_u32_e32 vcc_lo, s31, v22
	s_delay_alu instid0(VALU_DEP_2) | instskip(NEXT) | instid1(VALU_DEP_1)
	v_cndmask_b32_e32 v22, v24, v25, vcc_lo
	v_xor_b32_e32 v22, v22, v38
	s_delay_alu instid0(VALU_DEP_1) | instskip(SKIP_1) | instid1(VALU_DEP_1)
	v_sub_nc_u32_e32 v29, v22, v38
	v_mul_lo_u32 v22, v23, s31
	v_dual_add_nc_u32 v38, 1, v23 :: v_dual_sub_nc_u32 v22, v6, v22
	s_delay_alu instid0(VALU_DEP_1) | instskip(NEXT) | instid1(VALU_DEP_2)
	v_cmp_le_u32_e32 vcc_lo, s31, v22
	v_cndmask_b32_e32 v23, v23, v38, vcc_lo
	v_max_i32_e32 v6, v21, v42
	v_subrev_nc_u32_e32 v21, s31, v22
	s_delay_alu instid0(VALU_DEP_1) | instskip(NEXT) | instid1(VALU_DEP_3)
	v_dual_cndmask_b32 v21, v22, v21 :: v_dual_add_nc_u32 v22, 1, v23
	v_mul_u64_e32 v[24:25], s[18:19], v[6:7]
	s_delay_alu instid0(VALU_DEP_2) | instskip(NEXT) | instid1(VALU_DEP_2)
	v_cmp_le_u32_e32 vcc_lo, s31, v21
	v_dual_cndmask_b32 v21, v23, v22 :: v_dual_add_nc_u32 v22, 1, v25
	s_delay_alu instid0(VALU_DEP_1) | instskip(NEXT) | instid1(VALU_DEP_1)
	v_xor_b32_e32 v21, v21, v40
	v_sub_nc_u32_e32 v24, v21, v40
	v_mul_lo_u32 v21, v25, s31
	s_delay_alu instid0(VALU_DEP_1) | instskip(NEXT) | instid1(VALU_DEP_1)
	v_sub_nc_u32_e32 v23, v6, v21
	v_cmp_le_u32_e32 vcc_lo, s31, v23
	v_max_i32_e32 v6, v20, v30
	v_cndmask_b32_e32 v22, v25, v22, vcc_lo
	s_delay_alu instid0(VALU_DEP_2) | instskip(SKIP_1) | instid1(VALU_DEP_1)
	v_mul_u64_e32 v[20:21], s[18:19], v[6:7]
	v_subrev_nc_u32_e32 v20, s31, v23
	v_dual_cndmask_b32 v20, v23, v20 :: v_dual_add_nc_u32 v23, 1, v22
	s_delay_alu instid0(VALU_DEP_1) | instskip(NEXT) | instid1(VALU_DEP_2)
	v_cmp_le_u32_e32 vcc_lo, s31, v20
	v_dual_cndmask_b32 v20, v22, v23 :: v_dual_add_nc_u32 v25, 1, v21
	v_mul_lo_u32 v22, v21, s31
	s_delay_alu instid0(VALU_DEP_2) | instskip(NEXT) | instid1(VALU_DEP_1)
	v_xor_b32_e32 v20, v20, v44
	v_dual_sub_nc_u32 v20, v20, v44 :: v_dual_sub_nc_u32 v30, v6, v22
	v_max_i32_e32 v6, v19, v32
	s_delay_alu instid0(VALU_DEP_2) | instskip(NEXT) | instid1(VALU_DEP_2)
	v_subrev_nc_u32_e32 v19, s31, v30
	v_mul_u64_e32 v[22:23], s[18:19], v[6:7]
	v_cmp_le_u32_e32 vcc_lo, s31, v30
	s_delay_alu instid0(VALU_DEP_3) | instskip(NEXT) | instid1(VALU_DEP_1)
	v_dual_cndmask_b32 v21, v21, v25, vcc_lo :: v_dual_cndmask_b32 v19, v30, v19, vcc_lo
	v_add_nc_u32_e32 v22, 1, v21
	s_delay_alu instid0(VALU_DEP_2) | instskip(NEXT) | instid1(VALU_DEP_2)
	v_cmp_le_u32_e32 vcc_lo, s31, v19
	v_dual_cndmask_b32 v19, v21, v22 :: v_dual_add_nc_u32 v22, 1, v23
	v_mul_lo_u32 v21, v23, s31
	s_delay_alu instid0(VALU_DEP_2) | instskip(NEXT) | instid1(VALU_DEP_1)
	v_xor_b32_e32 v19, v19, v43
	v_dual_sub_nc_u32 v19, v43, v19 :: v_dual_sub_nc_u32 v21, v6, v21
	s_delay_alu instid0(VALU_DEP_1) | instskip(NEXT) | instid1(VALU_DEP_2)
	v_dual_add_nc_u32 v19, v37, v19 :: v_dual_max_i32 v6, v18, v34
	v_cmp_le_u32_e32 vcc_lo, s31, v21
	s_delay_alu instid0(VALU_DEP_2) | instskip(SKIP_1) | instid1(VALU_DEP_2)
	v_cvt_f32_i32_e32 v19, v19
	v_cndmask_b32_e32 v22, v23, v22, vcc_lo
	v_bfe_u32 v25, v19, 16, 1
	v_subrev_nc_u32_e32 v23, s31, v21
	s_delay_alu instid0(VALU_DEP_2) | instskip(NEXT) | instid1(VALU_DEP_2)
	v_add3_u32 v19, v19, v25, 0x7fff
	v_dual_cndmask_b32 v21, v21, v23, vcc_lo :: v_dual_add_nc_u32 v23, 1, v22
	s_delay_alu instid0(VALU_DEP_2) | instskip(SKIP_1) | instid1(VALU_DEP_3)
	v_and_b32_e32 v25, 0xffff0000, v19
	v_mul_u64_e32 v[18:19], s[18:19], v[6:7]
	v_cmp_le_u32_e32 vcc_lo, s31, v21
	s_delay_alu instid0(VALU_DEP_3) | instskip(SKIP_1) | instid1(VALU_DEP_2)
	v_div_scale_f32 v18, null, v25, v25, 1.0
	v_div_scale_f32 v30, s1, 1.0, v25, 1.0
	v_rcp_f32_e32 v32, v18
	v_cndmask_b32_e32 v21, v22, v23, vcc_lo
	s_mov_b32 vcc_lo, s1
	s_delay_alu instid0(TRANS32_DEP_1) | instskip(NEXT) | instid1(VALU_DEP_1)
	v_fma_f32 v22, -v18, v32, 1.0
	v_dual_fmac_f32 v32, v22, v32 :: v_dual_bitop2_b32 v21, v21, v31 bitop3:0x14
	s_delay_alu instid0(VALU_DEP_1) | instskip(NEXT) | instid1(VALU_DEP_1)
	v_dual_mul_f32 v22, v30, v32 :: v_dual_sub_nc_u32 v21, v31, v21
	v_dual_fma_f32 v23, -v18, v22, v30 :: v_dual_add_nc_u32 v21, v29, v21
	v_mul_lo_u32 v29, v19, s31
	s_delay_alu instid0(VALU_DEP_2) | instskip(NEXT) | instid1(VALU_DEP_3)
	v_dual_fmac_f32 v22, v23, v32 :: v_dual_add_nc_u32 v31, 1, v19
	v_cvt_f32_i32_e32 v21, v21
	s_delay_alu instid0(VALU_DEP_2) | instskip(NEXT) | instid1(VALU_DEP_2)
	v_fma_f32 v18, -v18, v22, v30
	v_bfe_u32 v23, v21, 16, 1
	s_delay_alu instid0(VALU_DEP_1) | instskip(SKIP_1) | instid1(VALU_DEP_4)
	v_add3_u32 v21, v21, v23, 0x7fff
	v_dual_sub_nc_u32 v23, v6, v29 :: v_dual_max_i32 v6, v1, v36
	v_div_fmas_f32 v1, v18, v32, v22
	s_delay_alu instid0(VALU_DEP_3) | instskip(NEXT) | instid1(VALU_DEP_3)
	v_and_b32_e32 v21, 0xffff0000, v21
	v_cmp_le_u32_e32 vcc_lo, s31, v23
	s_delay_alu instid0(VALU_DEP_3) | instskip(NEXT) | instid1(VALU_DEP_3)
	v_div_fixup_f32 v1, v1, v25, 1.0
	v_div_scale_f32 v25, s1, 1.0, v21, 1.0
	v_cndmask_b32_e32 v22, v19, v31, vcc_lo
	v_mul_u64_e32 v[18:19], s[18:19], v[6:7]
	v_subrev_nc_u32_e32 v29, s31, v23
	v_div_scale_f32 v18, null, v21, v21, 1.0
	v_bfe_u32 v30, v1, 16, 1
	s_delay_alu instid0(VALU_DEP_3) | instskip(NEXT) | instid1(VALU_DEP_3)
	v_dual_cndmask_b32 v23, v23, v29, vcc_lo :: v_dual_add_nc_u32 v29, 1, v22
	v_rcp_f32_e32 v31, v18
	s_delay_alu instid0(VALU_DEP_1) | instskip(NEXT) | instid1(VALU_DEP_3)
	v_cmp_le_u32_e32 vcc_lo, s31, v23
	v_add3_u32 v23, v1, v30, 0x7fff
	s_delay_alu instid0(VALU_DEP_1) | instskip(NEXT) | instid1(TRANS32_DEP_1)
	v_dual_cndmask_b32 v22, v22, v29 :: v_dual_lshrrev_b32 v23, 16, v23
	v_fma_f32 v29, -v18, v31, 1.0
	v_cmp_o_f32_e32 vcc_lo, v1, v1
	s_delay_alu instid0(VALU_DEP_2) | instskip(NEXT) | instid1(VALU_DEP_1)
	v_dual_fmac_f32 v31, v29, v31 :: v_dual_bitop2_b32 v22, v22, v33 bitop3:0x14
	v_dual_cndmask_b32 v22, 0x7fc0, v23 :: v_dual_sub_nc_u32 v1, v33, v22
	s_delay_alu instid0(VALU_DEP_1) | instskip(SKIP_4) | instid1(VALU_DEP_1)
	v_dual_mul_f32 v23, v25, v31 :: v_dual_add_nc_u32 v1, v24, v1
	ds_store_b16 v16, v22
	v_mul_lo_u32 v22, v19, s31
	v_dual_add_nc_u32 v24, 1, v19 :: v_dual_add_nc_u32 v16, s50, v16
	v_cvt_f32_i32_e32 v1, v1
	v_bfe_u32 v29, v1, 16, 1
	s_delay_alu instid0(VALU_DEP_4) | instskip(NEXT) | instid1(VALU_DEP_2)
	v_sub_nc_u32_e32 v6, v6, v22
	v_add3_u32 v1, v1, v29, 0x7fff
	s_delay_alu instid0(VALU_DEP_2) | instskip(SKIP_1) | instid1(VALU_DEP_3)
	v_cmp_le_u32_e32 vcc_lo, s31, v6
	v_subrev_nc_u32_e32 v22, s31, v6
	v_and_b32_e32 v1, 0xffff0000, v1
	s_delay_alu instid0(VALU_DEP_2) | instskip(NEXT) | instid1(VALU_DEP_2)
	v_dual_cndmask_b32 v19, v19, v24 :: v_dual_cndmask_b32 v6, v6, v22
	v_div_scale_f32 v29, s2, 1.0, v1, 1.0
	v_div_scale_f32 v24, null, v1, v1, 1.0
	s_delay_alu instid0(VALU_DEP_3) | instskip(NEXT) | instid1(VALU_DEP_4)
	v_add_nc_u32_e32 v22, 1, v19
	v_cmp_le_u32_e32 vcc_lo, s31, v6
	s_delay_alu instid0(VALU_DEP_2) | instskip(SKIP_1) | instid1(VALU_DEP_1)
	v_cndmask_b32_e32 v6, v19, v22, vcc_lo
	s_mov_b32 vcc_lo, s1
	v_xor_b32_e32 v6, v6, v35
	s_delay_alu instid0(VALU_DEP_1) | instskip(NEXT) | instid1(VALU_DEP_1)
	v_sub_nc_u32_e32 v6, v35, v6
	v_add_nc_u32_e32 v6, v20, v6
	v_rcp_f32_e32 v20, v24
	s_delay_alu instid0(VALU_DEP_1) | instskip(NEXT) | instid1(TRANS32_DEP_1)
	v_cvt_f32_i32_e32 v6, v6
	v_fma_f32 v30, -v24, v20, 1.0
	s_delay_alu instid0(VALU_DEP_2) | instskip(NEXT) | instid1(VALU_DEP_2)
	v_bfe_u32 v19, v6, 16, 1
	v_fmac_f32_e32 v20, v30, v20
	s_delay_alu instid0(VALU_DEP_2) | instskip(NEXT) | instid1(VALU_DEP_2)
	v_add3_u32 v6, v6, v19, 0x7fff
	v_mul_f32_e32 v33, v29, v20
	s_delay_alu instid0(VALU_DEP_2) | instskip(NEXT) | instid1(VALU_DEP_1)
	v_and_b32_e32 v6, 0xffff0000, v6
	v_div_scale_f32 v19, null, v6, v6, 1.0
	v_div_scale_f32 v32, s3, 1.0, v6, 1.0
	s_delay_alu instid0(VALU_DEP_2) | instskip(SKIP_1) | instid1(TRANS32_DEP_1)
	v_rcp_f32_e32 v22, v19
	v_nop
	v_fma_f32 v30, -v19, v22, 1.0
	s_delay_alu instid0(VALU_DEP_1) | instskip(SKIP_1) | instid1(VALU_DEP_1)
	v_fmac_f32_e32 v22, v30, v22
	v_fma_f32 v30, -v18, v23, v25
	v_dual_fmac_f32 v23, v30, v31 :: v_dual_mul_f32 v34, v32, v22
	s_delay_alu instid0(VALU_DEP_1) | instskip(NEXT) | instid1(VALU_DEP_2)
	v_fma_f32 v18, -v18, v23, v25
	v_dual_fma_f32 v30, -v24, v33, v29 :: v_dual_fma_f32 v35, -v19, v34, v32
	s_delay_alu instid0(VALU_DEP_2) | instskip(NEXT) | instid1(VALU_DEP_2)
	v_div_fmas_f32 v18, v18, v31, v23
	v_dual_fmac_f32 v33, v30, v20 :: v_dual_fmac_f32 v34, v35, v22
	s_mov_b32 vcc_lo, s2
	s_delay_alu instid0(VALU_DEP_2) | instskip(NEXT) | instid1(VALU_DEP_2)
	v_div_fixup_f32 v18, v18, v21, 1.0
	v_dual_fma_f32 v23, -v24, v33, v29 :: v_dual_fma_f32 v19, -v19, v34, v32
	s_delay_alu instid0(VALU_DEP_1) | instskip(SKIP_1) | instid1(VALU_DEP_2)
	v_div_fmas_f32 v20, v23, v20, v33
	s_mov_b32 vcc_lo, s3
	v_div_fmas_f32 v19, v19, v22, v34
	v_cmp_o_f32_e32 vcc_lo, v18, v18
	s_delay_alu instid0(VALU_DEP_3) | instskip(NEXT) | instid1(VALU_DEP_3)
	v_div_fixup_f32 v1, v20, v1, 1.0
	v_div_fixup_f32 v6, v19, v6, 1.0
	v_bfe_u32 v19, v18, 16, 1
	s_delay_alu instid0(VALU_DEP_3) | instskip(NEXT) | instid1(VALU_DEP_3)
	v_bfe_u32 v20, v1, 16, 1
	v_bfe_u32 v21, v6, 16, 1
	s_delay_alu instid0(VALU_DEP_3) | instskip(NEXT) | instid1(VALU_DEP_3)
	v_add3_u32 v19, v18, v19, 0x7fff
	v_add3_u32 v20, v1, v20, 0x7fff
	s_delay_alu instid0(VALU_DEP_3) | instskip(NEXT) | instid1(VALU_DEP_2)
	v_add3_u32 v21, v6, v21, 0x7fff
	v_dual_lshrrev_b32 v19, 16, v19 :: v_dual_lshrrev_b32 v18, 16, v20
	s_delay_alu instid0(VALU_DEP_1) | instskip(SKIP_1) | instid1(VALU_DEP_3)
	v_dual_cndmask_b32 v19, 0x7fc0, v19 :: v_dual_lshrrev_b32 v20, 16, v21
	v_cmp_o_f32_e32 vcc_lo, v1, v1
	v_cndmask_b32_e32 v1, 0x7fc0, v18, vcc_lo
	v_cmp_o_f32_e32 vcc_lo, v6, v6
	s_delay_alu instid0(VALU_DEP_4)
	v_cndmask_b32_e32 v6, 0x7fc0, v20, vcc_lo
	ds_store_b16 v26, v19
	ds_store_b16 v27, v1
	;; [unrolled: 1-line block ×3, first 2 shown]
	s_and_not1_b32 exec_lo, exec_lo, s49
	s_cbranch_execnz .LBB11_8
; %bb.9:
	s_or_b32 exec_lo, exec_lo, s49
	v_mad_u32 v7, v15, s27, v0
	v_cmp_ne_u32_e32 vcc_lo, v14, v15
	v_dual_mov_b32 v15, s38 :: v_dual_mov_b32 v4, s48
	v_dual_mov_b32 v5, s47 :: v_dual_mov_b32 v6, s31
	v_mov_b32_e32 v1, s41
	s_and_b32 s0, vcc_lo, exec_lo
	s_or_saveexec_b32 s1, s29
	v_mov_b64_e32 v[2:3], s[18:19]
	s_xor_b32 exec_lo, exec_lo, s1
	s_cbranch_execz .LBB11_6
.LBB11_10:
	s_abs_i32 s2, s8
	s_ashr_i32 s19, s8, 31
	s_cvt_f32_u32 s3, s2
	s_sub_co_i32 s33, 0, s2
	s_lshl_b32 s29, s7, 3
	s_lshl_b32 s30, s9, 1
	v_rcp_iflag_f32_e32 v1, s3
	s_mov_b32 s3, 0
	s_lshl_b32 s31, s27, 1
	v_dual_mov_b32 v5, s29 :: v_dual_mov_b32 v4, s30
	v_dual_mov_b32 v15, s31 :: v_dual_mov_b32 v7, v0
	s_delay_alu instid0(TRANS32_DEP_1) | instskip(SKIP_3) | instid1(SALU_CYCLE_3)
	v_readfirstlane_b32 s18, v1
	v_dual_mov_b32 v1, s19 :: v_dual_mov_b32 v6, s2
	s_or_b32 s0, s0, exec_lo
	s_mul_f32 s18, s18, 0x4f7ffffe
	s_cvt_u32_f32 s18, s18
	s_delay_alu instid0(SALU_CYCLE_3) | instskip(NEXT) | instid1(SALU_CYCLE_1)
	s_mul_i32 s33, s33, s18
	s_mul_hi_u32 s2, s18, s33
	s_delay_alu instid0(SALU_CYCLE_1) | instskip(NEXT) | instid1(SALU_CYCLE_1)
	s_add_co_i32 s2, s18, s2
	v_mov_b64_e32 v[2:3], s[2:3]
	s_or_b32 exec_lo, exec_lo, s1
	s_delay_alu instid0(SALU_CYCLE_1)
	s_and_b32 exec_lo, exec_lo, s0
	s_cbranch_execz .LBB11_13
.LBB11_11:
	v_mul_lo_u32 v14, v7, s6
	v_lshl_add_u32 v5, v7, 1, v5
	s_add_co_i32 s1, s8, s6
	s_mul_i32 s0, s6, s24
	s_mov_b32 s2, 0
	s_mul_i32 s0, s0, s26
	v_add3_u32 v16, v5, v4, 0
	v_mov_b32_e32 v5, 0
	s_mov_b32 s3, 0
	s_delay_alu instid0(VALU_DEP_4)
	v_add3_u32 v17, s1, v14, -1
	s_mul_i32 s1, s0, s25
.LBB11_12:                              ; =>This Inner Loop Header: Depth=1
	s_delay_alu instid0(VALU_DEP_1) | instskip(SKIP_2) | instid1(VALU_DEP_2)
	v_dual_add_nc_u32 v22, s3, v17 :: v_dual_add_nc_u32 v23, s3, v14
	v_add_nc_u32_e32 v7, s27, v7
	s_add_co_i32 s3, s3, s1
	v_dual_sub_nc_u32 v4, 0, v22 :: v_dual_sub_nc_u32 v20, 0, v23
	s_delay_alu instid0(VALU_DEP_1) | instskip(NEXT) | instid1(VALU_DEP_1)
	v_max_i32_e32 v4, v22, v4
	v_mul_u64_e32 v[18:19], v[4:5], v[2:3]
	s_delay_alu instid0(VALU_DEP_1) | instskip(NEXT) | instid1(VALU_DEP_1)
	v_mul_lo_u32 v18, v19, v6
	v_dual_add_nc_u32 v24, 1, v19 :: v_dual_sub_nc_u32 v18, v4, v18
	v_max_i32_e32 v4, v23, v20
	s_delay_alu instid0(VALU_DEP_2) | instskip(NEXT) | instid1(VALU_DEP_2)
	v_cmp_ge_u32_e32 vcc_lo, v18, v6
	v_mul_u64_e32 v[20:21], v[4:5], v[2:3]
	v_dual_ashrrev_i32 v20, 31, v22 :: v_dual_ashrrev_i32 v22, 31, v23
	s_delay_alu instid0(VALU_DEP_1) | instskip(NEXT) | instid1(VALU_DEP_2)
	v_dual_cndmask_b32 v19, v19, v24, vcc_lo :: v_dual_bitop2_b32 v20, v20, v1 bitop3:0x14
	v_xor_b32_e32 v22, v22, v1
	s_delay_alu instid0(VALU_DEP_4) | instskip(NEXT) | instid1(VALU_DEP_1)
	v_mul_lo_u32 v23, v21, v6
	v_dual_add_nc_u32 v24, 1, v21 :: v_dual_sub_nc_u32 v4, v4, v23
	v_sub_nc_u32_e32 v23, v18, v6
	s_delay_alu instid0(VALU_DEP_2) | instskip(NEXT) | instid1(VALU_DEP_1)
	v_cmp_ge_u32_e64 s0, v4, v6
	v_dual_sub_nc_u32 v25, v4, v6 :: v_dual_cndmask_b32 v21, v21, v24, s0
	s_delay_alu instid0(VALU_DEP_1) | instskip(NEXT) | instid1(VALU_DEP_2)
	v_dual_cndmask_b32 v18, v18, v23, vcc_lo :: v_dual_cndmask_b32 v4, v4, v25, s0
	v_dual_add_nc_u32 v23, 1, v19 :: v_dual_add_nc_u32 v24, 1, v21
	s_delay_alu instid0(VALU_DEP_2) | instskip(NEXT) | instid1(VALU_DEP_2)
	v_cmp_ge_u32_e32 vcc_lo, v18, v6
	v_cndmask_b32_e32 v18, v19, v23, vcc_lo
	s_delay_alu instid0(VALU_DEP_4) | instskip(NEXT) | instid1(VALU_DEP_4)
	v_cmp_ge_u32_e32 vcc_lo, v4, v6
	v_cndmask_b32_e32 v4, v21, v24, vcc_lo
	s_delay_alu instid0(VALU_DEP_3) | instskip(NEXT) | instid1(VALU_DEP_1)
	v_xor_b32_e32 v18, v18, v20
	v_dual_sub_nc_u32 v18, v18, v20 :: v_dual_bitop2_b32 v4, v4, v22 bitop3:0x14
	s_delay_alu instid0(VALU_DEP_1) | instskip(NEXT) | instid1(VALU_DEP_1)
	v_sub_nc_u32_e32 v4, v22, v4
	v_add_nc_u32_e32 v4, v18, v4
	s_delay_alu instid0(VALU_DEP_1) | instskip(NEXT) | instid1(VALU_DEP_1)
	v_cvt_f32_i32_e32 v4, v4
	v_bfe_u32 v18, v4, 16, 1
	s_delay_alu instid0(VALU_DEP_1) | instskip(NEXT) | instid1(VALU_DEP_1)
	v_add3_u32 v4, v4, v18, 0x7fff
	v_and_b32_e32 v4, 0xffff0000, v4
	s_delay_alu instid0(VALU_DEP_1) | instskip(SKIP_1) | instid1(VALU_DEP_2)
	v_div_scale_f32 v18, null, v4, v4, 1.0
	v_div_scale_f32 v21, vcc_lo, 1.0, v4, 1.0
	v_rcp_f32_e32 v19, v18
	v_nop
	s_delay_alu instid0(TRANS32_DEP_1) | instskip(NEXT) | instid1(VALU_DEP_1)
	v_fma_f32 v20, -v18, v19, 1.0
	v_fmac_f32_e32 v19, v20, v19
	s_delay_alu instid0(VALU_DEP_1) | instskip(NEXT) | instid1(VALU_DEP_1)
	v_mul_f32_e32 v20, v21, v19
	v_fma_f32 v22, -v18, v20, v21
	s_delay_alu instid0(VALU_DEP_1) | instskip(NEXT) | instid1(VALU_DEP_1)
	v_fmac_f32_e32 v20, v22, v19
	v_fma_f32 v18, -v18, v20, v21
	s_delay_alu instid0(VALU_DEP_1) | instskip(NEXT) | instid1(VALU_DEP_1)
	v_div_fmas_f32 v18, v18, v19, v20
	v_div_fixup_f32 v4, v18, v4, 1.0
	s_delay_alu instid0(VALU_DEP_1) | instskip(SKIP_1) | instid1(VALU_DEP_2)
	v_bfe_u32 v18, v4, 16, 1
	v_cmp_o_f32_e32 vcc_lo, v4, v4
	v_add3_u32 v18, v4, v18, 0x7fff
	s_delay_alu instid0(VALU_DEP_1) | instskip(NEXT) | instid1(VALU_DEP_1)
	v_lshrrev_b32_e32 v18, 16, v18
	v_cndmask_b32_e32 v4, 0x7fc0, v18, vcc_lo
	v_cmp_le_i32_e32 vcc_lo, s8, v7
	ds_store_b16 v16, v4
	v_add_nc_u32_e32 v16, v16, v15
	s_or_b32 s2, vcc_lo, s2
	s_delay_alu instid0(SALU_CYCLE_1)
	s_and_not1_b32 exec_lo, exec_lo, s2
	s_cbranch_execnz .LBB11_12
.LBB11_13:
	s_or_b32 exec_lo, exec_lo, s28
	s_delay_alu instid0(SALU_CYCLE_1)
	s_mov_b32 s28, exec_lo
	v_cmpx_gt_i32_e64 s9, v0
	s_cbranch_execz .LBB11_23
; %bb.14:
	v_mul_lo_u32 v1, v13, s26
	v_readfirstlane_b32 s0, v12
	s_sub_co_i32 s1, 0, s27
                                        ; implicit-def: $vgpr7
                                        ; implicit-def: $vgpr6
                                        ; implicit-def: $sgpr18_sgpr19
                                        ; implicit-def: $vgpr13
	s_mul_f32 s0, s0, 0x4f7ffffe
	s_delay_alu instid0(SALU_CYCLE_3) | instskip(SKIP_1) | instid1(SALU_CYCLE_2)
	s_cvt_u32_f32 s0, s0
	v_add_nc_u32_e32 v2, v9, v1
	s_mul_i32 s1, s1, s0
	s_delay_alu instid0(SALU_CYCLE_1) | instskip(NEXT) | instid1(VALU_DEP_1)
	s_mul_hi_u32 s1, s0, s1
	v_cmp_gt_i32_e32 vcc_lo, s9, v2
	v_max_i32_e32 v3, s9, v2
	s_add_co_i32 s0, s0, s1
	s_mov_b32 s1, exec_lo
	v_add_co_ci_u32_e64 v1, null, v9, v1, vcc_lo
	s_delay_alu instid0(VALU_DEP_1) | instskip(NEXT) | instid1(VALU_DEP_1)
	v_sub_nc_u32_e32 v1, v3, v1
	v_mul_hi_u32 v2, v1, s0
	s_delay_alu instid0(VALU_DEP_1) | instskip(NEXT) | instid1(VALU_DEP_1)
	v_mul_lo_u32 v3, v2, s27
	v_dual_sub_nc_u32 v1, v1, v3 :: v_dual_add_nc_u32 v3, 1, v2
	s_delay_alu instid0(VALU_DEP_1) | instskip(SKIP_1) | instid1(VALU_DEP_1)
	v_subrev_nc_u32_e32 v4, s27, v1
	v_cmp_le_u32_e64 s0, s27, v1
	v_dual_cndmask_b32 v2, v2, v3, s0 :: v_dual_cndmask_b32 v1, v1, v4, s0
                                        ; implicit-def: $vgpr4
	s_delay_alu instid0(VALU_DEP_1) | instskip(NEXT) | instid1(VALU_DEP_2)
	v_add_nc_u32_e32 v3, 1, v2
	v_cmp_le_u32_e64 s0, s27, v1
	s_delay_alu instid0(VALU_DEP_1) | instskip(SKIP_1) | instid1(VALU_DEP_1)
	v_cndmask_b32_e64 v1, v2, v3, s0
	s_mov_b32 s0, 0
	v_add_co_ci_u32_e64 v12, null, 1, v1, vcc_lo
                                        ; implicit-def: $vgpr1
	s_delay_alu instid0(VALU_DEP_1)
	v_cmpx_lt_u32_e32 3, v12
	s_xor_b32 s29, exec_lo, s1
	s_cbranch_execnz .LBB11_17
; %bb.15:
	s_or_saveexec_b32 s1, s29
	v_mov_b64_e32 v[2:3], s[18:19]
	s_xor_b32 exec_lo, exec_lo, s1
	s_cbranch_execnz .LBB11_20
.LBB11_16:
	s_or_b32 exec_lo, exec_lo, s1
	s_delay_alu instid0(SALU_CYCLE_1)
	s_and_b32 exec_lo, exec_lo, s0
	s_cbranch_execnz .LBB11_21
	s_branch .LBB11_23
.LBB11_17:
	s_abs_i32 s31, s9
	v_mad_u32 v3, s27, 3, v0
	s_cvt_f32_u32 s0, s31
	s_lshl_b32 s38, s27, 1
	v_dual_mov_b32 v7, 0 :: v_dual_bitop2_b32 v13, -4, v12 bitop3:0x40
	s_delay_alu instid0(SALU_CYCLE_1) | instskip(SKIP_1) | instid1(VALU_DEP_2)
	v_rcp_iflag_f32_e32 v2, s0
	v_dual_add_nc_u32 v1, s27, v0 :: v_dual_lshlrev_b32 v4, 1, v0
	v_mov_b32_e32 v15, v13
	s_lshl_b32 s47, s7, 3
	s_sub_co_i32 s1, 0, s31
	s_add_co_i32 s30, s9, -1
	s_delay_alu instid0(TRANS32_DEP_1)
	v_readfirstlane_b32 s0, v2
	v_add_nc_u32_e32 v2, s38, v0
	v_add3_u32 v14, 0, s47, v4
	s_lshl_b32 s42, s27, 2
	s_mov_b32 s19, 0
	s_mul_f32 s0, s0, 0x4f7ffffe
	v_mov_b64_e32 v[4:5], v[2:3]
	v_mov_b64_e32 v[2:3], v[0:1]
	s_mov_b32 s33, s30
	s_cvt_u32_f32 s0, s0
	s_mov_b32 s34, s30
	s_mov_b32 s35, s30
	;; [unrolled: 1-line block ×3, first 2 shown]
	s_mul_i32 s1, s1, s0
	s_mov_b32 s37, s7
	s_mul_hi_u32 s1, s0, s1
	s_mov_b32 s39, s7
	s_mov_b32 s40, s7
	;; [unrolled: 1-line block ×5, first 2 shown]
	s_mul_i32 s46, s27, 6
	s_ashr_i32 s41, s9, 31
	s_add_co_i32 s18, s0, s1
	s_lshl_b32 s49, s27, 3
	s_mov_b32 s48, s19
.LBB11_18:                              ; =>This Inner Loop Header: Depth=1
	v_mul_lo_u32 v18, v2, s36
	v_mul_lo_u32 v1, v5, s40
	;; [unrolled: 1-line block ×4, first 2 shown]
	v_dual_add_nc_u32 v26, s46, v14 :: v_dual_add_nc_u32 v15, -4, v15
	v_dual_add_nc_u32 v24, s38, v14 :: v_dual_add_nc_u32 v25, s42, v14
	v_dual_add_nc_u32 v5, s45, v5 :: v_dual_add_nc_u32 v4, s44, v4
	s_delay_alu instid0(VALU_DEP_3) | instskip(SKIP_4) | instid1(VALU_DEP_4)
	v_cmp_eq_u32_e64 s0, 0, v15
	v_add3_u32 v6, s30, s36, v18
	v_add3_u32 v19, s35, s40, v1
	;; [unrolled: 1-line block ×3, first 2 shown]
	v_dual_ashrrev_i32 v31, 31, v16 :: v_dual_sub_nc_u32 v32, 0, v16
	v_dual_ashrrev_i32 v35, 31, v6 :: v_dual_sub_nc_u32 v20, 0, v6
	s_delay_alu instid0(VALU_DEP_3) | instskip(SKIP_1) | instid1(VALU_DEP_3)
	v_dual_ashrrev_i32 v36, 31, v22 :: v_dual_sub_nc_u32 v37, 0, v22
	v_dual_ashrrev_i32 v23, 31, v18 :: v_dual_sub_nc_u32 v28, 0, v18
	v_dual_ashrrev_i32 v33, 31, v1 :: v_dual_max_i32 v6, v6, v20
	v_sub_nc_u32_e32 v34, 0, v1
	v_add3_u32 v27, s34, s39, v16
	v_dual_ashrrev_i32 v29, 31, v17 :: v_dual_sub_nc_u32 v30, 0, v17
	s_delay_alu instid0(VALU_DEP_4) | instskip(SKIP_4) | instid1(VALU_DEP_4)
	v_mul_u64_e32 v[20:21], s[18:19], v[6:7]
	v_ashrrev_i32_e32 v20, 31, v19
	v_xor_b32_e32 v41, s41, v23
	v_dual_ashrrev_i32 v38, 31, v27 :: v_dual_sub_nc_u32 v39, 0, v27
	v_dual_sub_nc_u32 v40, 0, v19 :: v_dual_bitop2_b32 v29, s41, v29 bitop3:0x14
	v_dual_add_nc_u32 v3, s43, v3 :: v_dual_bitop2_b32 v42, s41, v20 bitop3:0x14
	v_add_nc_u32_e32 v2, s42, v2
	s_or_b32 s48, s0, s48
	v_mul_lo_u32 v20, v21, s31
	v_dual_add_nc_u32 v43, 1, v21 :: v_dual_bitop2_b32 v31, s41, v31 bitop3:0x14
	s_delay_alu instid0(VALU_DEP_2) | instskip(SKIP_1) | instid1(VALU_DEP_2)
	v_sub_nc_u32_e32 v20, v6, v20
	v_max_i32_e32 v6, v22, v37
	v_cmp_le_u32_e32 vcc_lo, s31, v20
	s_delay_alu instid0(VALU_DEP_2) | instskip(SKIP_4) | instid1(VALU_DEP_1)
	v_mul_u64_e32 v[22:23], s[18:19], v[6:7]
	v_subrev_nc_u32_e32 v22, s31, v20
	v_xor_b32_e32 v33, s41, v33
	v_xor_b32_e32 v35, s41, v35
	v_dual_cndmask_b32 v21, v21, v43, vcc_lo :: v_dual_bitop2_b32 v36, s41, v36 bitop3:0x14
	v_dual_cndmask_b32 v20, v20, v22, vcc_lo :: v_dual_add_nc_u32 v22, 1, v21
	s_delay_alu instid0(VALU_DEP_1) | instskip(NEXT) | instid1(VALU_DEP_2)
	v_cmp_le_u32_e32 vcc_lo, s31, v20
	v_dual_cndmask_b32 v20, v21, v22, vcc_lo :: v_dual_add_nc_u32 v22, 1, v23
	s_delay_alu instid0(VALU_DEP_1) | instskip(NEXT) | instid1(VALU_DEP_1)
	v_xor_b32_e32 v20, v20, v35
	v_dual_sub_nc_u32 v35, v20, v35 :: v_dual_bitop2_b32 v38, s41, v38 bitop3:0x14
	v_mul_lo_u32 v20, v23, s31
	s_delay_alu instid0(VALU_DEP_1) | instskip(NEXT) | instid1(VALU_DEP_1)
	v_dual_sub_nc_u32 v37, v6, v20 :: v_dual_max_i32 v6, v27, v39
	v_cmp_le_u32_e32 vcc_lo, s31, v37
	s_delay_alu instid0(VALU_DEP_2) | instskip(SKIP_1) | instid1(VALU_DEP_1)
	v_mul_u64_e32 v[20:21], s[18:19], v[6:7]
	v_subrev_nc_u32_e32 v20, s31, v37
	v_dual_cndmask_b32 v22, v23, v22, vcc_lo :: v_dual_cndmask_b32 v20, v37, v20, vcc_lo
	s_delay_alu instid0(VALU_DEP_1) | instskip(NEXT) | instid1(VALU_DEP_2)
	v_add_nc_u32_e32 v23, 1, v22
	v_cmp_le_u32_e32 vcc_lo, s31, v20
	s_delay_alu instid0(VALU_DEP_2) | instskip(NEXT) | instid1(VALU_DEP_1)
	v_cndmask_b32_e32 v20, v22, v23, vcc_lo
	v_xor_b32_e32 v20, v20, v36
	s_delay_alu instid0(VALU_DEP_1) | instskip(SKIP_1) | instid1(VALU_DEP_1)
	v_sub_nc_u32_e32 v27, v20, v36
	v_mul_lo_u32 v20, v21, s31
	v_dual_add_nc_u32 v36, 1, v21 :: v_dual_sub_nc_u32 v20, v6, v20
	s_delay_alu instid0(VALU_DEP_1) | instskip(NEXT) | instid1(VALU_DEP_2)
	v_cmp_le_u32_e32 vcc_lo, s31, v20
	v_cndmask_b32_e32 v21, v21, v36, vcc_lo
	v_max_i32_e32 v6, v19, v40
	v_subrev_nc_u32_e32 v19, s31, v20
	s_delay_alu instid0(VALU_DEP_1) | instskip(NEXT) | instid1(VALU_DEP_3)
	v_dual_cndmask_b32 v19, v20, v19 :: v_dual_add_nc_u32 v20, 1, v21
	v_mul_u64_e32 v[22:23], s[18:19], v[6:7]
	s_delay_alu instid0(VALU_DEP_2) | instskip(NEXT) | instid1(VALU_DEP_2)
	v_cmp_le_u32_e32 vcc_lo, s31, v19
	v_dual_cndmask_b32 v19, v21, v20 :: v_dual_add_nc_u32 v20, 1, v23
	s_delay_alu instid0(VALU_DEP_1) | instskip(NEXT) | instid1(VALU_DEP_1)
	v_xor_b32_e32 v19, v19, v38
	v_sub_nc_u32_e32 v22, v19, v38
	v_mul_lo_u32 v19, v23, s31
	s_delay_alu instid0(VALU_DEP_1) | instskip(NEXT) | instid1(VALU_DEP_1)
	v_sub_nc_u32_e32 v21, v6, v19
	v_cmp_le_u32_e32 vcc_lo, s31, v21
	v_max_i32_e32 v6, v18, v28
	v_cndmask_b32_e32 v20, v23, v20, vcc_lo
	s_delay_alu instid0(VALU_DEP_2) | instskip(SKIP_1) | instid1(VALU_DEP_1)
	v_mul_u64_e32 v[18:19], s[18:19], v[6:7]
	v_subrev_nc_u32_e32 v18, s31, v21
	v_dual_cndmask_b32 v18, v21, v18 :: v_dual_add_nc_u32 v21, 1, v20
	s_delay_alu instid0(VALU_DEP_1) | instskip(NEXT) | instid1(VALU_DEP_2)
	v_cmp_le_u32_e32 vcc_lo, s31, v18
	v_dual_cndmask_b32 v18, v20, v21 :: v_dual_add_nc_u32 v23, 1, v19
	v_mul_lo_u32 v20, v19, s31
	s_delay_alu instid0(VALU_DEP_2) | instskip(NEXT) | instid1(VALU_DEP_1)
	v_xor_b32_e32 v18, v18, v42
	v_sub_nc_u32_e32 v18, v18, v42
	s_delay_alu instid0(VALU_DEP_3) | instskip(NEXT) | instid1(VALU_DEP_1)
	v_dual_sub_nc_u32 v28, v6, v20 :: v_dual_max_i32 v6, v17, v30
	v_subrev_nc_u32_e32 v17, s31, v28
	s_delay_alu instid0(VALU_DEP_2) | instskip(SKIP_1) | instid1(VALU_DEP_3)
	v_mul_u64_e32 v[20:21], s[18:19], v[6:7]
	v_cmp_le_u32_e32 vcc_lo, s31, v28
	v_dual_cndmask_b32 v19, v19, v23, vcc_lo :: v_dual_cndmask_b32 v17, v28, v17, vcc_lo
	s_delay_alu instid0(VALU_DEP_1) | instskip(NEXT) | instid1(VALU_DEP_2)
	v_add_nc_u32_e32 v20, 1, v19
	v_cmp_le_u32_e32 vcc_lo, s31, v17
	s_delay_alu instid0(VALU_DEP_2) | instskip(SKIP_1) | instid1(VALU_DEP_2)
	v_dual_cndmask_b32 v17, v19, v20 :: v_dual_add_nc_u32 v20, 1, v21
	v_mul_lo_u32 v19, v21, s31
	v_xor_b32_e32 v17, v17, v41
	s_delay_alu instid0(VALU_DEP_1) | instskip(NEXT) | instid1(VALU_DEP_1)
	v_dual_sub_nc_u32 v17, v41, v17 :: v_dual_sub_nc_u32 v19, v6, v19
	v_dual_add_nc_u32 v17, v35, v17 :: v_dual_max_i32 v6, v16, v32
	s_delay_alu instid0(VALU_DEP_2) | instskip(NEXT) | instid1(VALU_DEP_2)
	v_cmp_le_u32_e32 vcc_lo, s31, v19
	v_cvt_f32_i32_e32 v17, v17
	v_cndmask_b32_e32 v20, v21, v20, vcc_lo
	s_delay_alu instid0(VALU_DEP_2) | instskip(SKIP_1) | instid1(VALU_DEP_2)
	v_bfe_u32 v23, v17, 16, 1
	v_subrev_nc_u32_e32 v21, s31, v19
	v_add3_u32 v17, v17, v23, 0x7fff
	s_delay_alu instid0(VALU_DEP_2) | instskip(NEXT) | instid1(VALU_DEP_2)
	v_dual_cndmask_b32 v19, v19, v21, vcc_lo :: v_dual_add_nc_u32 v21, 1, v20
	v_and_b32_e32 v23, 0xffff0000, v17
	v_mul_u64_e32 v[16:17], s[18:19], v[6:7]
	s_delay_alu instid0(VALU_DEP_3) | instskip(NEXT) | instid1(VALU_DEP_3)
	v_cmp_le_u32_e32 vcc_lo, s31, v19
	v_div_scale_f32 v16, null, v23, v23, 1.0
	v_div_scale_f32 v28, s1, 1.0, v23, 1.0
	s_delay_alu instid0(VALU_DEP_2) | instskip(SKIP_2) | instid1(TRANS32_DEP_1)
	v_rcp_f32_e32 v30, v16
	v_cndmask_b32_e32 v19, v20, v21, vcc_lo
	s_mov_b32 vcc_lo, s1
	v_fma_f32 v20, -v16, v30, 1.0
	s_delay_alu instid0(VALU_DEP_1) | instskip(NEXT) | instid1(VALU_DEP_1)
	v_dual_fmac_f32 v30, v20, v30 :: v_dual_bitop2_b32 v19, v19, v29 bitop3:0x14
	v_dual_mul_f32 v20, v28, v30 :: v_dual_sub_nc_u32 v19, v29, v19
	s_delay_alu instid0(VALU_DEP_1) | instskip(SKIP_1) | instid1(VALU_DEP_2)
	v_dual_fma_f32 v21, -v16, v20, v28 :: v_dual_add_nc_u32 v19, v27, v19
	v_mul_lo_u32 v27, v17, s31
	v_dual_fmac_f32 v20, v21, v30 :: v_dual_add_nc_u32 v29, 1, v17
	s_delay_alu instid0(VALU_DEP_3) | instskip(NEXT) | instid1(VALU_DEP_2)
	v_cvt_f32_i32_e32 v19, v19
	v_fma_f32 v16, -v16, v20, v28
	s_delay_alu instid0(VALU_DEP_2) | instskip(NEXT) | instid1(VALU_DEP_1)
	v_bfe_u32 v21, v19, 16, 1
	v_add3_u32 v19, v19, v21, 0x7fff
	v_dual_sub_nc_u32 v21, v6, v27 :: v_dual_max_i32 v6, v1, v34
	s_delay_alu instid0(VALU_DEP_4) | instskip(NEXT) | instid1(VALU_DEP_3)
	v_div_fmas_f32 v1, v16, v30, v20
	v_and_b32_e32 v19, 0xffff0000, v19
	s_delay_alu instid0(VALU_DEP_3) | instskip(SKIP_1) | instid1(VALU_DEP_4)
	v_cmp_le_u32_e32 vcc_lo, s31, v21
	v_subrev_nc_u32_e32 v27, s31, v21
	v_div_fixup_f32 v1, v1, v23, 1.0
	s_delay_alu instid0(VALU_DEP_4) | instskip(SKIP_1) | instid1(VALU_DEP_4)
	v_div_scale_f32 v23, s1, 1.0, v19, 1.0
	v_cndmask_b32_e32 v20, v17, v29, vcc_lo
	v_cndmask_b32_e32 v21, v21, v27, vcc_lo
	s_delay_alu instid0(VALU_DEP_4) | instskip(NEXT) | instid1(VALU_DEP_3)
	v_bfe_u32 v28, v1, 16, 1
	v_add_nc_u32_e32 v27, 1, v20
	v_mul_u64_e32 v[16:17], s[18:19], v[6:7]
	s_delay_alu instid0(VALU_DEP_4) | instskip(NEXT) | instid1(VALU_DEP_4)
	v_cmp_le_u32_e32 vcc_lo, s31, v21
	v_add3_u32 v21, v1, v28, 0x7fff
	v_div_scale_f32 v16, null, v19, v19, 1.0
	s_delay_alu instid0(VALU_DEP_2) | instskip(SKIP_1) | instid1(VALU_DEP_3)
	v_dual_cndmask_b32 v20, v20, v27 :: v_dual_lshrrev_b32 v21, 16, v21
	v_cmp_o_f32_e32 vcc_lo, v1, v1
	v_rcp_f32_e32 v29, v16
	s_delay_alu instid0(VALU_DEP_2) | instskip(NEXT) | instid1(VALU_DEP_1)
	v_xor_b32_e32 v20, v20, v31
	v_dual_cndmask_b32 v20, 0x7fc0, v21 :: v_dual_sub_nc_u32 v1, v31, v20
	s_delay_alu instid0(TRANS32_DEP_1) | instskip(SKIP_3) | instid1(VALU_DEP_1)
	v_fma_f32 v27, -v16, v29, 1.0
	ds_store_b16 v14, v20
	v_dual_fmac_f32 v29, v27, v29 :: v_dual_add_nc_u32 v14, s49, v14
	v_mul_lo_u32 v20, v17, s31
	v_dual_mul_f32 v21, v23, v29 :: v_dual_sub_nc_u32 v6, v6, v20
	s_delay_alu instid0(VALU_DEP_1) | instskip(SKIP_2) | instid1(VALU_DEP_1)
	v_cmp_le_u32_e32 vcc_lo, s31, v6
	v_add_nc_u32_e32 v1, v22, v1
	v_subrev_nc_u32_e32 v20, s31, v6
	v_dual_add_nc_u32 v22, 1, v17 :: v_dual_cndmask_b32 v6, v6, v20, vcc_lo
	s_delay_alu instid0(VALU_DEP_1) | instskip(NEXT) | instid1(VALU_DEP_4)
	v_cndmask_b32_e32 v17, v17, v22, vcc_lo
	v_cvt_f32_i32_e32 v1, v1
	s_delay_alu instid0(VALU_DEP_3) | instskip(NEXT) | instid1(VALU_DEP_3)
	v_cmp_le_u32_e32 vcc_lo, s31, v6
	v_add_nc_u32_e32 v20, 1, v17
	s_delay_alu instid0(VALU_DEP_3) | instskip(NEXT) | instid1(VALU_DEP_2)
	v_bfe_u32 v27, v1, 16, 1
	v_cndmask_b32_e32 v6, v17, v20, vcc_lo
	s_delay_alu instid0(VALU_DEP_2) | instskip(SKIP_1) | instid1(VALU_DEP_2)
	v_add3_u32 v1, v1, v27, 0x7fff
	s_mov_b32 vcc_lo, s1
	v_xor_b32_e32 v6, v6, v33
	s_delay_alu instid0(VALU_DEP_2) | instskip(NEXT) | instid1(VALU_DEP_2)
	v_and_b32_e32 v1, 0xffff0000, v1
	v_sub_nc_u32_e32 v6, v33, v6
	s_delay_alu instid0(VALU_DEP_2) | instskip(SKIP_1) | instid1(VALU_DEP_3)
	v_div_scale_f32 v22, null, v1, v1, 1.0
	v_div_scale_f32 v27, s2, 1.0, v1, 1.0
	v_add_nc_u32_e32 v6, v18, v6
	s_delay_alu instid0(VALU_DEP_3) | instskip(NEXT) | instid1(VALU_DEP_1)
	v_rcp_f32_e32 v18, v22
	v_cvt_f32_i32_e32 v6, v6
	s_delay_alu instid0(TRANS32_DEP_1) | instskip(NEXT) | instid1(VALU_DEP_2)
	v_fma_f32 v28, -v22, v18, 1.0
	v_bfe_u32 v17, v6, 16, 1
	s_delay_alu instid0(VALU_DEP_2) | instskip(NEXT) | instid1(VALU_DEP_2)
	v_fmac_f32_e32 v18, v28, v18
	v_add3_u32 v6, v6, v17, 0x7fff
	s_delay_alu instid0(VALU_DEP_1) | instskip(NEXT) | instid1(VALU_DEP_1)
	v_and_b32_e32 v6, 0xffff0000, v6
	v_div_scale_f32 v17, null, v6, v6, 1.0
	v_div_scale_f32 v30, s3, 1.0, v6, 1.0
	s_delay_alu instid0(VALU_DEP_2) | instskip(SKIP_1) | instid1(TRANS32_DEP_1)
	v_rcp_f32_e32 v20, v17
	v_nop
	v_fma_f32 v28, -v17, v20, 1.0
	s_delay_alu instid0(VALU_DEP_1) | instskip(SKIP_1) | instid1(VALU_DEP_1)
	v_fmac_f32_e32 v20, v28, v20
	v_dual_fma_f32 v28, -v16, v21, v23 :: v_dual_mul_f32 v31, v27, v18
	v_dual_mul_f32 v32, v30, v20 :: v_dual_fmac_f32 v21, v28, v29
	s_delay_alu instid0(VALU_DEP_1) | instskip(NEXT) | instid1(VALU_DEP_2)
	v_dual_fma_f32 v28, -v22, v31, v27 :: v_dual_fma_f32 v33, -v17, v32, v30
	v_fma_f32 v16, -v16, v21, v23
	s_delay_alu instid0(VALU_DEP_2) | instskip(NEXT) | instid1(VALU_DEP_2)
	v_dual_fmac_f32 v31, v28, v18 :: v_dual_fmac_f32 v32, v33, v20
	v_div_fmas_f32 v16, v16, v29, v21
	s_delay_alu instid0(VALU_DEP_2) | instskip(SKIP_1) | instid1(VALU_DEP_3)
	v_fma_f32 v21, -v22, v31, v27
	s_mov_b32 vcc_lo, s2
	v_fma_f32 v17, -v17, v32, v30
	s_delay_alu instid0(VALU_DEP_3) | instskip(NEXT) | instid1(VALU_DEP_3)
	v_div_fixup_f32 v16, v16, v19, 1.0
	v_div_fmas_f32 v18, v21, v18, v31
	s_mov_b32 vcc_lo, s3
	s_delay_alu instid0(VALU_DEP_3) | instskip(NEXT) | instid1(VALU_DEP_3)
	v_div_fmas_f32 v17, v17, v20, v32
	v_cmp_o_f32_e32 vcc_lo, v16, v16
	s_delay_alu instid0(VALU_DEP_3) | instskip(NEXT) | instid1(VALU_DEP_3)
	v_div_fixup_f32 v1, v18, v1, 1.0
	v_div_fixup_f32 v6, v17, v6, 1.0
	v_bfe_u32 v17, v16, 16, 1
	s_delay_alu instid0(VALU_DEP_3) | instskip(NEXT) | instid1(VALU_DEP_3)
	v_bfe_u32 v18, v1, 16, 1
	v_bfe_u32 v19, v6, 16, 1
	s_delay_alu instid0(VALU_DEP_3) | instskip(NEXT) | instid1(VALU_DEP_3)
	v_add3_u32 v17, v16, v17, 0x7fff
	v_add3_u32 v18, v1, v18, 0x7fff
	s_delay_alu instid0(VALU_DEP_3) | instskip(NEXT) | instid1(VALU_DEP_2)
	v_add3_u32 v19, v6, v19, 0x7fff
	v_dual_lshrrev_b32 v17, 16, v17 :: v_dual_lshrrev_b32 v16, 16, v18
	s_delay_alu instid0(VALU_DEP_1) | instskip(SKIP_1) | instid1(VALU_DEP_3)
	v_dual_cndmask_b32 v17, 0x7fc0, v17 :: v_dual_lshrrev_b32 v18, 16, v19
	v_cmp_o_f32_e32 vcc_lo, v1, v1
	v_cndmask_b32_e32 v1, 0x7fc0, v16, vcc_lo
	v_cmp_o_f32_e32 vcc_lo, v6, v6
	s_delay_alu instid0(VALU_DEP_4)
	v_cndmask_b32_e32 v6, 0x7fc0, v18, vcc_lo
	ds_store_b16 v24, v17
	ds_store_b16 v25, v1
	;; [unrolled: 1-line block ×3, first 2 shown]
	s_and_not1_b32 exec_lo, exec_lo, s48
	s_cbranch_execnz .LBB11_18
; %bb.19:
	s_or_b32 exec_lo, exec_lo, s48
	v_mad_u32 v7, v13, s27, v0
	v_cmp_ne_u32_e32 vcc_lo, v12, v13
	v_dual_mov_b32 v13, s38 :: v_dual_mov_b32 v4, s47
	v_dual_mov_b32 v6, s31 :: v_dual_mov_b32 v1, s41
	s_and_b32 s0, vcc_lo, exec_lo
	s_or_saveexec_b32 s1, s29
	v_mov_b64_e32 v[2:3], s[18:19]
	s_xor_b32 exec_lo, exec_lo, s1
	s_cbranch_execz .LBB11_16
.LBB11_20:
	s_abs_i32 s2, s9
	s_ashr_i32 s19, s9, 31
	s_cvt_f32_u32 s3, s2
	s_sub_co_i32 s31, 0, s2
	s_lshl_b32 s29, s7, 3
	s_lshl_b32 s30, s27, 1
	v_rcp_iflag_f32_e32 v1, s3
	v_dual_mov_b32 v4, s29 :: v_dual_mov_b32 v13, s30
	v_mov_b32_e32 v7, v0
	s_or_b32 s0, s0, exec_lo
	v_mov_b32_e32 v6, s2
	s_delay_alu instid0(TRANS32_DEP_1) | instskip(SKIP_3) | instid1(SALU_CYCLE_2)
	v_readfirstlane_b32 s3, v1
	v_mov_b32_e32 v1, s19
	s_mul_f32 s18, s3, 0x4f7ffffe
	s_mov_b32 s3, 0
	s_cvt_u32_f32 s18, s18
	s_delay_alu instid0(SALU_CYCLE_3) | instskip(NEXT) | instid1(SALU_CYCLE_1)
	s_mul_i32 s31, s31, s18
	s_mul_hi_u32 s2, s18, s31
	s_delay_alu instid0(SALU_CYCLE_1) | instskip(NEXT) | instid1(SALU_CYCLE_1)
	s_add_co_i32 s2, s18, s2
	v_mov_b64_e32 v[2:3], s[2:3]
	s_or_b32 exec_lo, exec_lo, s1
	s_delay_alu instid0(SALU_CYCLE_1)
	s_and_b32 exec_lo, exec_lo, s0
	s_cbranch_execz .LBB11_23
.LBB11_21:
	v_mul_lo_u32 v12, v7, s7
	v_lshlrev_b32_e32 v5, 1, v7
	s_add_co_i32 s1, s9, s7
	s_mul_i32 s0, s7, s24
	s_mov_b32 s2, 0
	s_mul_i32 s0, s0, s26
	v_add3_u32 v14, v4, v5, 0
	v_mov_b32_e32 v5, 0
	s_mov_b32 s3, 0
	s_delay_alu instid0(VALU_DEP_4)
	v_add3_u32 v15, s1, v12, -1
	s_mul_i32 s1, s0, s25
.LBB11_22:                              ; =>This Inner Loop Header: Depth=1
	s_delay_alu instid0(VALU_DEP_1) | instskip(SKIP_1) | instid1(VALU_DEP_1)
	v_dual_add_nc_u32 v20, s3, v15 :: v_dual_add_nc_u32 v21, s3, v12
	s_add_co_i32 s3, s3, s1
	v_dual_add_nc_u32 v7, s27, v7 :: v_dual_sub_nc_u32 v4, 0, v20
	s_delay_alu instid0(VALU_DEP_1) | instskip(NEXT) | instid1(VALU_DEP_1)
	v_dual_sub_nc_u32 v18, 0, v21 :: v_dual_max_i32 v4, v20, v4
	v_mul_u64_e32 v[16:17], v[4:5], v[2:3]
	s_delay_alu instid0(VALU_DEP_1) | instskip(NEXT) | instid1(VALU_DEP_1)
	v_mul_lo_u32 v16, v17, v6
	v_dual_sub_nc_u32 v16, v4, v16 :: v_dual_max_i32 v4, v21, v18
	v_add_nc_u32_e32 v22, 1, v17
	s_delay_alu instid0(VALU_DEP_2) | instskip(NEXT) | instid1(VALU_DEP_3)
	v_cmp_ge_u32_e32 vcc_lo, v16, v6
	v_mul_u64_e32 v[18:19], v[4:5], v[2:3]
	v_dual_ashrrev_i32 v18, 31, v20 :: v_dual_ashrrev_i32 v20, 31, v21
	s_delay_alu instid0(VALU_DEP_1) | instskip(NEXT) | instid1(VALU_DEP_3)
	v_xor_b32_e32 v20, v20, v1
	v_mul_lo_u32 v21, v19, v6
	s_delay_alu instid0(VALU_DEP_1) | instskip(NEXT) | instid1(VALU_DEP_4)
	v_sub_nc_u32_e32 v4, v4, v21
	v_dual_sub_nc_u32 v21, v16, v6 :: v_dual_bitop2_b32 v18, v18, v1 bitop3:0x14
	v_dual_cndmask_b32 v17, v17, v22 :: v_dual_add_nc_u32 v22, 1, v19
	s_delay_alu instid0(VALU_DEP_3) | instskip(SKIP_1) | instid1(VALU_DEP_1)
	v_sub_nc_u32_e32 v23, v4, v6
	v_cmp_ge_u32_e64 s0, v4, v6
	v_dual_cndmask_b32 v19, v19, v22, s0 :: v_dual_cndmask_b32 v16, v16, v21, vcc_lo
	s_delay_alu instid0(VALU_DEP_3) | instskip(NEXT) | instid1(VALU_DEP_2)
	v_dual_add_nc_u32 v21, 1, v17 :: v_dual_cndmask_b32 v4, v4, v23, s0
	v_add_nc_u32_e32 v22, 1, v19
	s_delay_alu instid0(VALU_DEP_3) | instskip(NEXT) | instid1(VALU_DEP_3)
	v_cmp_ge_u32_e32 vcc_lo, v16, v6
	v_cndmask_b32_e32 v16, v17, v21, vcc_lo
	s_delay_alu instid0(VALU_DEP_4) | instskip(NEXT) | instid1(VALU_DEP_4)
	v_cmp_ge_u32_e32 vcc_lo, v4, v6
	v_cndmask_b32_e32 v4, v19, v22, vcc_lo
	s_delay_alu instid0(VALU_DEP_3) | instskip(NEXT) | instid1(VALU_DEP_2)
	v_xor_b32_e32 v16, v16, v18
	v_xor_b32_e32 v4, v4, v20
	s_delay_alu instid0(VALU_DEP_2) | instskip(NEXT) | instid1(VALU_DEP_2)
	v_sub_nc_u32_e32 v16, v16, v18
	v_sub_nc_u32_e32 v4, v20, v4
	s_delay_alu instid0(VALU_DEP_1) | instskip(NEXT) | instid1(VALU_DEP_1)
	v_add_nc_u32_e32 v4, v16, v4
	v_cvt_f32_i32_e32 v4, v4
	s_delay_alu instid0(VALU_DEP_1) | instskip(NEXT) | instid1(VALU_DEP_1)
	v_bfe_u32 v16, v4, 16, 1
	v_add3_u32 v4, v4, v16, 0x7fff
	s_delay_alu instid0(VALU_DEP_1) | instskip(NEXT) | instid1(VALU_DEP_1)
	v_and_b32_e32 v4, 0xffff0000, v4
	v_div_scale_f32 v16, null, v4, v4, 1.0
	v_div_scale_f32 v19, vcc_lo, 1.0, v4, 1.0
	s_delay_alu instid0(VALU_DEP_2) | instskip(SKIP_1) | instid1(TRANS32_DEP_1)
	v_rcp_f32_e32 v17, v16
	v_nop
	v_fma_f32 v18, -v16, v17, 1.0
	s_delay_alu instid0(VALU_DEP_1) | instskip(NEXT) | instid1(VALU_DEP_1)
	v_fmac_f32_e32 v17, v18, v17
	v_mul_f32_e32 v18, v19, v17
	s_delay_alu instid0(VALU_DEP_1) | instskip(NEXT) | instid1(VALU_DEP_1)
	v_fma_f32 v20, -v16, v18, v19
	v_fmac_f32_e32 v18, v20, v17
	s_delay_alu instid0(VALU_DEP_1) | instskip(NEXT) | instid1(VALU_DEP_1)
	v_fma_f32 v16, -v16, v18, v19
	v_div_fmas_f32 v16, v16, v17, v18
	s_delay_alu instid0(VALU_DEP_1) | instskip(NEXT) | instid1(VALU_DEP_1)
	v_div_fixup_f32 v4, v16, v4, 1.0
	v_bfe_u32 v16, v4, 16, 1
	v_cmp_o_f32_e32 vcc_lo, v4, v4
	s_delay_alu instid0(VALU_DEP_2) | instskip(NEXT) | instid1(VALU_DEP_1)
	v_add3_u32 v16, v4, v16, 0x7fff
	v_lshrrev_b32_e32 v16, 16, v16
	s_delay_alu instid0(VALU_DEP_1) | instskip(SKIP_4) | instid1(SALU_CYCLE_1)
	v_cndmask_b32_e32 v4, 0x7fc0, v16, vcc_lo
	v_cmp_le_i32_e32 vcc_lo, s9, v7
	ds_store_b16 v14, v4
	v_add_nc_u32_e32 v14, v14, v13
	s_or_b32 s2, vcc_lo, s2
	s_and_not1_b32 exec_lo, exec_lo, s2
	s_cbranch_execnz .LBB11_22
.LBB11_23:
	s_or_b32 exec_lo, exec_lo, s28
	s_cvt_f32_u32 s0, s4
	s_and_b32 s2, ttmp6, 15
	s_getreg_b32 s18, hwreg(HW_REG_IB_STS2, 6, 4)
	s_mul_i32 s19, s27, s11
	v_rcp_iflag_f32_e32 v1, s0
	s_bfe_u32 s0, ttmp6, 0x4000c
	s_mov_b32 s28, exec_lo
	s_add_co_i32 s0, s0, 1
	s_delay_alu instid0(SALU_CYCLE_1) | instskip(NEXT) | instid1(SALU_CYCLE_1)
	s_mul_i32 s0, ttmp9, s0
	s_add_co_i32 s2, s2, s0
	v_nop
	v_readfirstlane_b32 s1, v1
	s_cmp_eq_u32 s18, 0
	s_cselect_b32 s0, ttmp9, s2
	s_mul_f32 s1, s1, 0x4f7ffffe
	s_delay_alu instid0(SALU_CYCLE_3) | instskip(SKIP_1) | instid1(SALU_CYCLE_2)
	s_cvt_u32_f32 s3, s1
	s_sub_co_i32 s1, 0, s4
	s_mul_i32 s1, s1, s3
	s_delay_alu instid0(SALU_CYCLE_1)
	s_mul_hi_u32 s2, s3, s1
	s_mov_b32 s1, 0
	s_add_co_i32 s2, s3, s2
	s_mov_b32 s3, s1
	v_cmpx_gt_u32_e64 s19, v0
	s_cbranch_execz .LBB11_26
; %bb.24:
	s_lshl_b32 s29, s7, 3
	s_lshl_b32 s30, s9, 1
	v_dual_mov_b32 v2, 0 :: v_dual_lshlrev_b32 v1, 1, v0
	s_add_co_i32 s29, s29, s30
	s_lshl_b32 s30, s8, 1
	s_delay_alu instid0(SALU_CYCLE_1)
	s_add_co_i32 s29, s29, s30
	s_mov_b32 s30, s1
	v_add3_u32 v1, 0, s29, v1
	s_lshl_b32 s29, s27, 1
.LBB11_25:                              ; =>This Inner Loop Header: Depth=1
	v_add_nc_u32_e32 v0, s27, v0
	ds_store_b16 v1, v2
	v_add_nc_u32_e32 v1, s29, v1
	v_cmp_le_u32_e32 vcc_lo, s19, v0
	s_or_b32 s30, vcc_lo, s30
	s_delay_alu instid0(SALU_CYCLE_1)
	s_and_not1_b32 exec_lo, exec_lo, s30
	s_cbranch_execnz .LBB11_25
.LBB11_26:
	s_or_b32 exec_lo, exec_lo, s28
	s_mul_u64 s[2:3], s[0:1], s[2:3]
	s_cvt_f32_u32 s1, s17
	s_wait_dscnt 0x0
	s_barrier_signal -1
	s_barrier_wait -1
	v_rcp_iflag_f32_e32 v0, s1
	v_nop
	s_delay_alu instid0(TRANS32_DEP_1) | instskip(SKIP_1) | instid1(SALU_CYCLE_3)
	v_readfirstlane_b32 s1, v0
	s_mul_f32 s1, s1, 0x4f7ffffe
	s_cvt_u32_f32 s2, s1
	s_sub_co_i32 s1, 0, s17
	s_delay_alu instid0(SALU_CYCLE_2) | instskip(SKIP_4) | instid1(SALU_CYCLE_1)
	s_mul_i32 s19, s1, s2
	s_add_co_i32 s1, s6, -1
	s_mul_hi_u32 s19, s2, s19
	s_add_co_i32 s27, s1, s17
	s_add_co_i32 s2, s2, s19
	s_mul_hi_u32 s2, s27, s2
	s_delay_alu instid0(SALU_CYCLE_1) | instskip(NEXT) | instid1(SALU_CYCLE_1)
	s_mul_i32 s19, s2, s17
	s_sub_co_i32 s19, s27, s19
	s_add_co_i32 s27, s2, 1
	s_sub_co_i32 s28, s19, s17
	s_cmp_ge_u32 s19, s17
	s_cselect_b32 s2, s27, s2
	s_cselect_b32 s19, s28, s19
	s_add_co_i32 s27, s2, 1
	s_cmp_ge_u32 s19, s17
	s_cselect_b32 s2, s27, s2
	s_bfe_u32 s19, ttmp6, 0x40014
	s_bfe_u32 s29, ttmp6, 0x40010
	s_lshr_b32 s17, ttmp7, 16
	s_and_b32 s28, ttmp7, 0xffff
	s_add_co_i32 s19, s19, 1
	s_add_co_i32 s29, s29, 1
	s_bfe_u32 s27, ttmp6, 0x40008
	s_bfe_u32 s30, ttmp6, 0x40004
	s_mul_i32 s19, s17, s19
	s_mul_i32 s29, s28, s29
	s_add_co_i32 s27, s27, s19
	s_add_co_i32 s30, s30, s29
	s_cmp_eq_u32 s18, 0
	s_mov_b32 s19, 0
	s_cselect_b32 s17, s17, s27
	s_mov_b32 s18, exec_lo
	v_mad_u32 v11, s2, s17, v11
	s_cvt_f32_u32 s17, s16
	s_delay_alu instid0(SALU_CYCLE_3) | instskip(NEXT) | instid1(VALU_DEP_1)
	v_rcp_iflag_f32_e32 v0, s17
	v_add_min_i32_e64 v12, v11, s2, s6
	s_delay_alu instid0(TRANS32_DEP_1)
	v_readfirstlane_b32 s17, v0
	s_cselect_b32 s2, s28, s30
	v_cmpx_lt_i32_e64 v11, v12
	s_cbranch_execz .LBB11_44
; %bb.27:
	s_mul_f32 s17, s17, 0x4f7ffffe
	s_sub_co_i32 s27, 0, s16
	s_mul_i32 s28, s3, s4
	s_add_co_i32 s18, s7, s16
	s_cvt_u32_f32 s17, s17
	s_sub_co_i32 s31, s0, s28
	s_add_co_i32 s30, s3, 1
	s_add_co_i32 s18, s18, -1
	s_mul_i32 s27, s27, s17
	s_sub_co_i32 s33, s31, s4
	s_mul_hi_u32 s27, s17, s27
	s_mov_b32 s29, s19
	s_add_co_i32 s28, s17, s27
	s_cmp_ge_u32 s31, s4
	s_mul_u64 s[28:29], s[18:19], s[28:29]
	s_cselect_b32 s3, s30, s3
	s_cselect_b32 s17, s33, s31
	s_add_co_i32 s27, s3, 1
	s_cmp_ge_u32 s17, s4
	s_mul_i32 s17, s6, s5
	s_cselect_b32 s3, s27, s3
	s_mul_i32 s17, s17, s7
	s_mul_i32 s4, s3, s4
	v_mul_lo_u32 v0, s11, v10
	s_sub_co_i32 s0, s0, s4
	s_mul_i32 s4, s29, s16
	s_mul_i32 s30, s17, s0
	;; [unrolled: 1-line block ×3, first 2 shown]
	s_ashr_i32 s31, s30, 31
	s_ashr_i32 s35, s34, 31
	s_sub_co_i32 s0, s18, s4
	s_lshl_b64 s[30:31], s[30:31], 1
	s_lshl_b64 s[34:35], s[34:35], 1
	s_add_co_i32 s4, s29, 1
	s_sub_co_i32 s11, s0, s16
	s_cmp_ge_u32 s0, s16
	v_mul_lo_u32 v0, v0, s26
	s_cselect_b32 s4, s4, s29
	s_cselect_b32 s0, s11, s0
	s_add_co_i32 s11, s4, 1
	s_cmp_ge_u32 s0, s16
	v_mad_u32 v10, s3, s26, v9
	s_cselect_b32 s0, s11, s4
	s_abs_i32 s4, s6
	v_mad_u32 v8, s0, s2, v8
	s_cvt_f32_u32 s11, s4
	s_delay_alu instid0(VALU_DEP_3) | instskip(SKIP_1) | instid1(SALU_CYCLE_1)
	v_dual_lshlrev_b32 v2, 1, v9 :: v_dual_lshlrev_b32 v0, 1, v0
	s_lshl_b32 s3, s7, 2
	v_rcp_iflag_f32_e32 v1, s11
	s_wait_kmcnt 0x0
	s_add_nc_u64 s[16:17], s[22:23], s[34:35]
	s_lshl_b32 s23, s9, 1
	s_add_co_i32 s9, s3, 0
	s_lshl_b32 s18, s7, 3
	s_mul_i32 s12, s10, s26
	v_add_min_i32_e64 v9, v8, s0, s7
	v_readfirstlane_b32 s2, v1
	s_sub_co_i32 s0, 0, s4
	s_add_nc_u64 s[10:11], s[20:21], s[30:31]
	s_add_co_i32 s20, s9, s3
	v_mul_lo_u32 v13, s13, v10
	s_mul_f32 s2, s2, 0x4f7ffffe
	v_add3_u32 v0, v0, s18, v2
	s_lshl_b32 s22, s8, 1
	v_mov_b32_e32 v1, 0
	s_cvt_u32_f32 s2, s2
	s_ashr_i32 s6, s6, 31
	s_add_co_i32 s21, s20, s23
	s_mul_i32 s13, s12, s13
	s_mul_i32 s3, s0, s2
	v_cmp_lt_i32_e64 s0, v8, v9
	s_mul_hi_u32 s3, s2, s3
	v_cmp_gt_i32_e32 vcc_lo, s5, v10
	s_add_co_i32 s18, s2, s3
	s_add_co_i32 s2, s22, 0
	s_add_co_i32 s22, s8, s1
	v_add3_u32 v14, s2, s23, v0
	s_lshl_b32 s23, s26, 1
	s_mov_b32 s26, s19
	s_branch .LBB11_29
.LBB11_28:                              ;   in Loop: Header=BB11_29 Depth=1
	s_or_b32 exec_lo, exec_lo, s27
	v_add_nc_u32_e32 v11, s25, v11
	s_delay_alu instid0(VALU_DEP_1) | instskip(SKIP_1) | instid1(SALU_CYCLE_1)
	v_cmp_ge_i32_e64 s1, v11, v12
	s_or_b32 s26, s1, s26
	s_and_not1_b32 exec_lo, exec_lo, s26
	s_cbranch_execz .LBB11_44
.LBB11_29:                              ; =>This Loop Header: Depth=1
                                        ;     Child Loop BB11_32 Depth 2
                                        ;       Child Loop BB11_35 Depth 3
                                        ;         Child Loop BB11_38 Depth 4
                                        ;           Child Loop BB11_40 Depth 5
                                        ;       Child Loop BB11_43 Depth 3
	s_and_saveexec_b32 s27, s0
	s_cbranch_execz .LBB11_28
; %bb.30:                               ;   in Loop: Header=BB11_29 Depth=1
	v_mul_lo_u32 v6, v11, s8
	s_mov_b32 s28, 0
	s_delay_alu instid0(VALU_DEP_1) | instskip(NEXT) | instid1(VALU_DEP_1)
	v_dual_mov_b32 v17, v8 :: v_dual_sub_nc_u32 v0, 0, v6
	v_dual_add_nc_u32 v7, s22, v6 :: v_dual_max_i32 v0, v6, v0
	s_delay_alu instid0(VALU_DEP_1) | instskip(NEXT) | instid1(VALU_DEP_2)
	v_sub_nc_u32_e32 v4, 0, v7
	v_mul_u64_e32 v[2:3], s[18:19], v[0:1]
	s_delay_alu instid0(VALU_DEP_1) | instskip(SKIP_1) | instid1(VALU_DEP_1)
	v_dual_ashrrev_i32 v6, 31, v6 :: v_dual_add_nc_u32 v15, 1, v3
	v_mul_lo_u32 v2, v3, s4
	v_dual_sub_nc_u32 v2, v0, v2 :: v_dual_max_i32 v0, v7, v4
	s_delay_alu instid0(VALU_DEP_1) | instskip(NEXT) | instid1(VALU_DEP_2)
	v_cmp_le_u32_e64 s1, s4, v2
	v_mul_u64_e32 v[4:5], s[18:19], v[0:1]
	s_delay_alu instid0(VALU_DEP_2) | instskip(SKIP_1) | instid1(VALU_DEP_3)
	v_cndmask_b32_e64 v3, v3, v15, s1
	v_subrev_nc_u32_e32 v15, s4, v2
	v_mul_lo_u32 v4, v5, s4
	s_delay_alu instid0(VALU_DEP_1) | instskip(SKIP_1) | instid1(VALU_DEP_2)
	v_dual_sub_nc_u32 v0, v0, v4 :: v_dual_bitop2_b32 v6, s6, v6 bitop3:0x14
	v_add_nc_u32_e32 v4, 1, v5
	v_subrev_nc_u32_e32 v16, s4, v0
	v_cmp_le_u32_e64 s2, s4, v0
	s_delay_alu instid0(VALU_DEP_1) | instskip(NEXT) | instid1(VALU_DEP_4)
	v_dual_cndmask_b32 v2, v2, v15, s1 :: v_dual_cndmask_b32 v0, v0, v16, s2
	v_dual_cndmask_b32 v4, v5, v4, s2 :: v_dual_ashrrev_i32 v5, 31, v7
	v_add_nc_u32_e32 v7, 1, v3
	s_delay_alu instid0(VALU_DEP_3) | instskip(NEXT) | instid1(VALU_DEP_3)
	v_cmp_le_u32_e64 s1, s4, v2
	v_dual_add_nc_u32 v15, 1, v4 :: v_dual_bitop2_b32 v5, s6, v5 bitop3:0x14
	s_delay_alu instid0(VALU_DEP_2) | instskip(SKIP_1) | instid1(VALU_DEP_1)
	v_cndmask_b32_e64 v2, v3, v7, s1
	v_cmp_le_u32_e64 s1, s4, v0
	v_dual_cndmask_b32 v0, v4, v15, s1 :: v_dual_bitop2_b32 v2, v2, v6 bitop3:0x14
	s_delay_alu instid0(VALU_DEP_1) | instskip(SKIP_1) | instid1(VALU_DEP_2)
	v_dual_sub_nc_u32 v15, v2, v6 :: v_dual_bitop2_b32 v3, v0, v5 bitop3:0x14
	v_mul_lo_u32 v0, v11, s7
	v_sub_nc_u32_e32 v16, v3, v5
	s_delay_alu instid0(VALU_DEP_1)
	v_cmp_lt_i32_e64 s1, v15, v16
	s_branch .LBB11_32
.LBB11_31:                              ;   in Loop: Header=BB11_32 Depth=2
	s_or_b32 exec_lo, exec_lo, s3
	v_add_nc_u32_e32 v17, s24, v17
	s_delay_alu instid0(VALU_DEP_1) | instskip(SKIP_1) | instid1(SALU_CYCLE_1)
	v_cmp_ge_i32_e64 s2, v17, v9
	s_or_b32 s28, s2, s28
	s_and_not1_b32 exec_lo, exec_lo, s28
	s_cbranch_execz .LBB11_28
.LBB11_32:                              ;   Parent Loop BB11_29 Depth=1
                                        ; =>  This Loop Header: Depth=2
                                        ;       Child Loop BB11_35 Depth 3
                                        ;         Child Loop BB11_38 Depth 4
                                        ;           Child Loop BB11_40 Depth 5
                                        ;       Child Loop BB11_43 Depth 3
	s_delay_alu instid0(VALU_DEP_1)
	s_and_saveexec_b32 s29, s1
	s_cbranch_execz .LBB11_41
; %bb.33:                               ;   in Loop: Header=BB11_32 Depth=2
	v_dual_lshlrev_b32 v2, 2, v17 :: v_dual_mov_b32 v20, v15
	s_mov_b32 s30, 0
	s_delay_alu instid0(VALU_DEP_1)
	v_dual_add_nc_u32 v3, 0, v2 :: v_dual_add_nc_u32 v2, s9, v2
	ds_load_b32 v18, v3
	ds_load_b32 v19, v2
	s_wait_dscnt 0x0
	v_cmp_lt_i32_e64 s2, v18, v19
	s_branch .LBB11_35
.LBB11_34:                              ;   in Loop: Header=BB11_35 Depth=3
	s_or_b32 exec_lo, exec_lo, s31
	v_add_nc_u32_e32 v20, 1, v20
	s_delay_alu instid0(VALU_DEP_1) | instskip(SKIP_1) | instid1(SALU_CYCLE_1)
	v_cmp_ge_i32_e64 s3, v20, v16
	s_or_b32 s30, s3, s30
	s_and_not1_b32 exec_lo, exec_lo, s30
	s_cbranch_execz .LBB11_41
.LBB11_35:                              ;   Parent Loop BB11_29 Depth=1
                                        ;     Parent Loop BB11_32 Depth=2
                                        ; =>    This Loop Header: Depth=3
                                        ;         Child Loop BB11_38 Depth 4
                                        ;           Child Loop BB11_40 Depth 5
	s_delay_alu instid0(VALU_DEP_1)
	s_and_saveexec_b32 s31, s2
	s_cbranch_execz .LBB11_34
; %bb.36:                               ;   in Loop: Header=BB11_35 Depth=3
	v_mul_lo_u32 v2, v20, s14
	v_lshl_add_u32 v21, v20, 1, s21
	s_mov_b32 s33, 0
	s_delay_alu instid0(VALU_DEP_2) | instskip(NEXT) | instid1(VALU_DEP_1)
	v_dual_mov_b32 v22, v18 :: v_dual_ashrrev_i32 v3, 31, v2
	v_lshl_add_u64 v[2:3], v[2:3], 1, s[16:17]
	s_branch .LBB11_38
.LBB11_37:                              ;   in Loop: Header=BB11_38 Depth=4
	s_or_b32 exec_lo, exec_lo, s34
	v_add_nc_u32_e32 v22, 1, v22
	s_delay_alu instid0(VALU_DEP_1) | instskip(SKIP_1) | instid1(SALU_CYCLE_1)
	v_cmp_ge_i32_e64 s3, v22, v19
	s_or_b32 s33, s3, s33
	s_and_not1_b32 exec_lo, exec_lo, s33
	s_cbranch_execz .LBB11_34
.LBB11_38:                              ;   Parent Loop BB11_29 Depth=1
                                        ;     Parent Loop BB11_32 Depth=2
                                        ;       Parent Loop BB11_35 Depth=3
                                        ; =>      This Loop Header: Depth=4
                                        ;           Child Loop BB11_40 Depth 5
	s_and_saveexec_b32 s34, vcc_lo
	s_cbranch_execz .LBB11_37
; %bb.39:                               ;   in Loop: Header=BB11_38 Depth=4
	v_lshl_add_u32 v4, v22, 1, s20
	v_mul_lo_u32 v6, v22, s15
	v_dual_mov_b32 v23, v14 :: v_dual_mov_b32 v25, v10
	s_mov_b32 s35, 0
	ds_load_u16 v4, v4
	ds_load_u16 v5, v21
	v_ashrrev_i32_e32 v7, 31, v6
	s_delay_alu instid0(VALU_DEP_1) | instskip(SKIP_2) | instid1(VALU_DEP_1)
	v_lshl_add_u64 v[6:7], v[6:7], 1, v[2:3]
	s_wait_dscnt 0x0
	v_dual_lshlrev_b32 v4, 16, v4 :: v_dual_lshlrev_b32 v5, 16, v5
	v_mul_f32_e32 v5, v5, v4
	s_delay_alu instid0(VALU_DEP_1) | instskip(SKIP_1) | instid1(VALU_DEP_2)
	v_bfe_u32 v4, v5, 16, 1
	v_cmp_o_f32_e64 s3, v5, v5
	v_add3_u32 v4, v5, v4, 0x7fff
	s_delay_alu instid0(VALU_DEP_1) | instskip(SKIP_1) | instid1(VALU_DEP_2)
	v_and_b32_e32 v24, 0xffff0000, v4
	v_mov_b32_e32 v4, v13
	v_cndmask_b32_e64 v24, 0x7fc00000, v24, s3
.LBB11_40:                              ;   Parent Loop BB11_29 Depth=1
                                        ;     Parent Loop BB11_32 Depth=2
                                        ;       Parent Loop BB11_35 Depth=3
                                        ;         Parent Loop BB11_38 Depth=4
                                        ; =>        This Inner Loop Header: Depth=5
	s_delay_alu instid0(VALU_DEP_2) | instskip(NEXT) | instid1(VALU_DEP_1)
	v_dual_ashrrev_i32 v5, 31, v4 :: v_dual_add_nc_u32 v25, s12, v25
	v_lshl_add_u64 v[26:27], v[4:5], 1, v[6:7]
	v_add_nc_u32_e32 v4, s13, v4
	global_load_u16 v5, v[26:27], off
	s_wait_xcnt 0x0
	ds_load_u16 v26, v23
	s_wait_loadcnt_dscnt 0x0
	v_dual_lshlrev_b32 v26, 16, v26 :: v_dual_lshlrev_b32 v5, 16, v5
	s_delay_alu instid0(VALU_DEP_1) | instskip(NEXT) | instid1(VALU_DEP_1)
	v_mul_f32_e32 v5, v24, v5
	v_bfe_u32 v27, v5, 16, 1
	v_cmp_o_f32_e64 s3, v5, v5
	s_delay_alu instid0(VALU_DEP_2) | instskip(NEXT) | instid1(VALU_DEP_1)
	v_add3_u32 v27, v5, v27, 0x7fff
	v_and_b32_e32 v27, 0xffff0000, v27
	s_delay_alu instid0(VALU_DEP_1) | instskip(NEXT) | instid1(VALU_DEP_1)
	v_cndmask_b32_e64 v5, 0x7fc00000, v27, s3
	v_add_f32_e32 v5, v5, v26
	s_delay_alu instid0(VALU_DEP_1) | instskip(SKIP_1) | instid1(VALU_DEP_2)
	v_bfe_u32 v26, v5, 16, 1
	v_cmp_o_f32_e64 s3, v5, v5
	v_add3_u32 v26, v5, v26, 0x7fff
	s_delay_alu instid0(VALU_DEP_1) | instskip(NEXT) | instid1(VALU_DEP_1)
	v_lshrrev_b32_e32 v26, 16, v26
	v_cndmask_b32_e64 v5, 0x7fc0, v26, s3
	v_cmp_le_i32_e64 s3, s5, v25
	ds_store_b16 v23, v5
	v_add_nc_u32_e32 v23, s23, v23
	s_or_b32 s35, s3, s35
	s_delay_alu instid0(SALU_CYCLE_1)
	s_and_not1_b32 exec_lo, exec_lo, s35
	s_cbranch_execnz .LBB11_40
	s_branch .LBB11_37
.LBB11_41:                              ;   in Loop: Header=BB11_32 Depth=2
	s_or_b32 exec_lo, exec_lo, s29
	s_and_saveexec_b32 s3, vcc_lo
	s_cbranch_execz .LBB11_31
; %bb.42:                               ;   in Loop: Header=BB11_32 Depth=2
	s_delay_alu instid0(VALU_DEP_3) | instskip(SKIP_2) | instid1(VALU_DEP_2)
	v_dual_add_nc_u32 v2, v17, v0 :: v_dual_mov_b32 v6, v14
	s_mov_b32 s29, 0
	v_mov_b32_e32 v4, v10
	v_mul_lo_u32 v2, v2, s5
	s_delay_alu instid0(VALU_DEP_1) | instskip(NEXT) | instid1(VALU_DEP_1)
	v_ashrrev_i32_e32 v3, 31, v2
	v_lshl_add_u64 v[2:3], v[2:3], 1, s[10:11]
.LBB11_43:                              ;   Parent Loop BB11_29 Depth=1
                                        ;     Parent Loop BB11_32 Depth=2
                                        ; =>    This Inner Loop Header: Depth=3
	ds_load_u16 v7, v6
	v_ashrrev_i32_e32 v5, 31, v4
	ds_store_b16 v6, v1
	v_add_nc_u32_e32 v6, s23, v6
	v_lshl_add_u64 v[18:19], v[4:5], 1, v[2:3]
	v_add_nc_u32_e32 v4, s12, v4
	s_delay_alu instid0(VALU_DEP_1)
	v_cmp_le_i32_e64 s2, s5, v4
	s_or_b32 s29, s2, s29
	s_wait_dscnt 0x1
	global_store_b16 v[18:19], v7, off
	s_wait_xcnt 0x0
	s_and_not1_b32 exec_lo, exec_lo, s29
	s_cbranch_execnz .LBB11_43
	s_branch .LBB11_31
.LBB11_44:
	s_endpgm
	.section	.rodata,"a",@progbits
	.p2align	6, 0x0
	.amdhsa_kernel _ZN2at6native12_GLOBAL__N_131adaptive_average_gradinput_nhwcIiN3c108BFloat16EEEvPT0_PKS5_iiiiiiiiT_S9_S9_S9_
		.amdhsa_group_segment_fixed_size 0
		.amdhsa_private_segment_fixed_size 0
		.amdhsa_kernarg_size 320
		.amdhsa_user_sgpr_count 2
		.amdhsa_user_sgpr_dispatch_ptr 0
		.amdhsa_user_sgpr_queue_ptr 0
		.amdhsa_user_sgpr_kernarg_segment_ptr 1
		.amdhsa_user_sgpr_dispatch_id 0
		.amdhsa_user_sgpr_kernarg_preload_length 0
		.amdhsa_user_sgpr_kernarg_preload_offset 0
		.amdhsa_user_sgpr_private_segment_size 0
		.amdhsa_wavefront_size32 1
		.amdhsa_uses_dynamic_stack 0
		.amdhsa_enable_private_segment 0
		.amdhsa_system_sgpr_workgroup_id_x 1
		.amdhsa_system_sgpr_workgroup_id_y 1
		.amdhsa_system_sgpr_workgroup_id_z 1
		.amdhsa_system_sgpr_workgroup_info 0
		.amdhsa_system_vgpr_workitem_id 2
		.amdhsa_next_free_vgpr 46
		.amdhsa_next_free_sgpr 51
		.amdhsa_named_barrier_count 0
		.amdhsa_reserve_vcc 1
		.amdhsa_float_round_mode_32 0
		.amdhsa_float_round_mode_16_64 0
		.amdhsa_float_denorm_mode_32 3
		.amdhsa_float_denorm_mode_16_64 3
		.amdhsa_fp16_overflow 0
		.amdhsa_memory_ordered 1
		.amdhsa_forward_progress 1
		.amdhsa_inst_pref_size 65
		.amdhsa_round_robin_scheduling 0
		.amdhsa_exception_fp_ieee_invalid_op 0
		.amdhsa_exception_fp_denorm_src 0
		.amdhsa_exception_fp_ieee_div_zero 0
		.amdhsa_exception_fp_ieee_overflow 0
		.amdhsa_exception_fp_ieee_underflow 0
		.amdhsa_exception_fp_ieee_inexact 0
		.amdhsa_exception_int_div_zero 0
	.end_amdhsa_kernel
	.section	.text._ZN2at6native12_GLOBAL__N_131adaptive_average_gradinput_nhwcIiN3c108BFloat16EEEvPT0_PKS5_iiiiiiiiT_S9_S9_S9_,"axG",@progbits,_ZN2at6native12_GLOBAL__N_131adaptive_average_gradinput_nhwcIiN3c108BFloat16EEEvPT0_PKS5_iiiiiiiiT_S9_S9_S9_,comdat
.Lfunc_end11:
	.size	_ZN2at6native12_GLOBAL__N_131adaptive_average_gradinput_nhwcIiN3c108BFloat16EEEvPT0_PKS5_iiiiiiiiT_S9_S9_S9_, .Lfunc_end11-_ZN2at6native12_GLOBAL__N_131adaptive_average_gradinput_nhwcIiN3c108BFloat16EEEvPT0_PKS5_iiiiiiiiT_S9_S9_S9_
                                        ; -- End function
	.set _ZN2at6native12_GLOBAL__N_131adaptive_average_gradinput_nhwcIiN3c108BFloat16EEEvPT0_PKS5_iiiiiiiiT_S9_S9_S9_.num_vgpr, 46
	.set _ZN2at6native12_GLOBAL__N_131adaptive_average_gradinput_nhwcIiN3c108BFloat16EEEvPT0_PKS5_iiiiiiiiT_S9_S9_S9_.num_agpr, 0
	.set _ZN2at6native12_GLOBAL__N_131adaptive_average_gradinput_nhwcIiN3c108BFloat16EEEvPT0_PKS5_iiiiiiiiT_S9_S9_S9_.numbered_sgpr, 51
	.set _ZN2at6native12_GLOBAL__N_131adaptive_average_gradinput_nhwcIiN3c108BFloat16EEEvPT0_PKS5_iiiiiiiiT_S9_S9_S9_.num_named_barrier, 0
	.set _ZN2at6native12_GLOBAL__N_131adaptive_average_gradinput_nhwcIiN3c108BFloat16EEEvPT0_PKS5_iiiiiiiiT_S9_S9_S9_.private_seg_size, 0
	.set _ZN2at6native12_GLOBAL__N_131adaptive_average_gradinput_nhwcIiN3c108BFloat16EEEvPT0_PKS5_iiiiiiiiT_S9_S9_S9_.uses_vcc, 1
	.set _ZN2at6native12_GLOBAL__N_131adaptive_average_gradinput_nhwcIiN3c108BFloat16EEEvPT0_PKS5_iiiiiiiiT_S9_S9_S9_.uses_flat_scratch, 0
	.set _ZN2at6native12_GLOBAL__N_131adaptive_average_gradinput_nhwcIiN3c108BFloat16EEEvPT0_PKS5_iiiiiiiiT_S9_S9_S9_.has_dyn_sized_stack, 0
	.set _ZN2at6native12_GLOBAL__N_131adaptive_average_gradinput_nhwcIiN3c108BFloat16EEEvPT0_PKS5_iiiiiiiiT_S9_S9_S9_.has_recursion, 0
	.set _ZN2at6native12_GLOBAL__N_131adaptive_average_gradinput_nhwcIiN3c108BFloat16EEEvPT0_PKS5_iiiiiiiiT_S9_S9_S9_.has_indirect_call, 0
	.section	.AMDGPU.csdata,"",@progbits
; Kernel info:
; codeLenInByte = 8208
; TotalNumSgprs: 53
; NumVgprs: 46
; ScratchSize: 0
; MemoryBound: 0
; FloatMode: 240
; IeeeMode: 1
; LDSByteSize: 0 bytes/workgroup (compile time only)
; SGPRBlocks: 0
; VGPRBlocks: 2
; NumSGPRsForWavesPerEU: 53
; NumVGPRsForWavesPerEU: 46
; NamedBarCnt: 0
; Occupancy: 16
; WaveLimiterHint : 0
; COMPUTE_PGM_RSRC2:SCRATCH_EN: 0
; COMPUTE_PGM_RSRC2:USER_SGPR: 2
; COMPUTE_PGM_RSRC2:TRAP_HANDLER: 0
; COMPUTE_PGM_RSRC2:TGID_X_EN: 1
; COMPUTE_PGM_RSRC2:TGID_Y_EN: 1
; COMPUTE_PGM_RSRC2:TGID_Z_EN: 1
; COMPUTE_PGM_RSRC2:TIDIG_COMP_CNT: 2
	.section	.text._ZN2at6native12_GLOBAL__N_133atomic_adaptive_average_gradinputIdEEvPT_PKS3_iiii,"axG",@progbits,_ZN2at6native12_GLOBAL__N_133atomic_adaptive_average_gradinputIdEEvPT_PKS3_iiii,comdat
	.globl	_ZN2at6native12_GLOBAL__N_133atomic_adaptive_average_gradinputIdEEvPT_PKS3_iiii ; -- Begin function _ZN2at6native12_GLOBAL__N_133atomic_adaptive_average_gradinputIdEEvPT_PKS3_iiii
	.p2align	8
	.type	_ZN2at6native12_GLOBAL__N_133atomic_adaptive_average_gradinputIdEEvPT_PKS3_iiii,@function
_ZN2at6native12_GLOBAL__N_133atomic_adaptive_average_gradinputIdEEvPT_PKS3_iiii: ; @_ZN2at6native12_GLOBAL__N_133atomic_adaptive_average_gradinputIdEEvPT_PKS3_iiii
; %bb.0:
	s_clause 0x1
	s_load_b32 s2, s[0:1], 0x2c
	s_load_b128 s[4:7], s[0:1], 0x10
	s_bfe_u32 s3, ttmp6, 0x40010
	s_bfe_u32 s8, ttmp6, 0x40004
	s_add_co_i32 s3, s3, 1
	s_getreg_b32 s14, hwreg(HW_REG_IB_STS2, 6, 4)
	s_mul_i32 s3, ttmp7, s3
	v_bfe_u32 v1, v0, 10, 10
	s_add_co_i32 s8, s8, s3
	s_wait_kmcnt 0x0
	s_lshr_b32 s13, s2, 16
	s_cmp_eq_u32 s14, 0
	s_cselect_b32 s3, ttmp7, s8
	s_mov_b32 s8, exec_lo
	v_mad_u32 v14, s3, s13, v1
	s_mov_b32 s3, 0
	s_delay_alu instid0(VALU_DEP_1)
	v_cmpx_gt_i32_e64 s6, v14
	s_cbranch_execz .LBB12_20
; %bb.1:
	s_load_b128 s[8:11], s[0:1], 0x0
	s_add_nc_u64 s[16:17], s[0:1], 32
	s_wait_xcnt 0x0
	s_bfe_u32 s0, ttmp6, 0x4000c
	s_and_b32 s1, ttmp6, 15
	s_add_co_i32 s0, s0, 1
	s_mov_b32 s12, s6
	s_mul_i32 s0, ttmp9, s0
	v_cvt_f32_u32_e32 v1, s12
	s_add_co_i32 s1, s1, s0
	s_cmp_eq_u32 s14, 0
	v_and_b32_e32 v15, 0x3ff, v0
	s_cselect_b32 s0, ttmp9, s1
	s_abs_i32 s33, s6
	s_mul_i32 s1, s6, s0
	s_mul_i32 s14, s4, s0
	;; [unrolled: 1-line block ×3, first 2 shown]
	v_rcp_iflag_f32_e32 v1, v1
	s_cvt_f32_u32 s15, s33
	s_ashr_i32 s1, s0, 31
	s_abs_i32 s35, s7
	s_lshl_b64 s[0:1], s[0:1], 3
	v_rcp_iflag_f32_e32 v2, s15
	s_wait_kmcnt 0x0
	s_add_nc_u64 s[10:11], s[10:11], s[0:1]
	s_cvt_f32_u32 s0, s35
	v_mul_f32_e32 v1, 0x4f7ffffe, v1
	s_load_b32 s34, s[16:17], 0x4
	s_wait_xcnt 0x0
	s_sub_co_i32 s16, 0, s6
	v_rcp_iflag_f32_e32 v0, s0
	v_readfirstlane_b32 s1, v2
	v_cvt_u32_f32_e32 v2, v1
	s_and_b32 s36, s2, 0xffff
	s_sub_co_i32 s18, 0, s33
	s_mul_i32 s22, s14, s5
	s_mul_f32 s1, s1, 0x4f7ffffe
	v_readfirstlane_b32 s2, v0
	v_mul_lo_u32 v0, s16, v2
	s_sub_co_i32 s19, 0, s35
	s_cvt_u32_f32 s1, s1
	s_ashr_i32 s23, s22, 31
	s_mul_f32 s2, s2, 0x4f7ffffe
	v_cmp_gt_i32_e64 s0, s7, v15
	s_mul_i32 s18, s18, s1
	v_mov_b32_e32 v1, 0
	s_cvt_u32_f32 s2, s2
	s_mul_hi_u32 s18, s1, s18
	s_wait_kmcnt 0x0
	s_mul_i32 s34, s34, s13
	v_mul_hi_u32 v0, v2, v0
	s_mul_i32 s19, s19, s2
	s_ashr_i32 s13, s6, 31
	s_ashr_i32 s15, s5, 31
	s_mov_b32 s14, s5
	s_ashr_i32 s17, s7, 31
	s_add_co_i32 s18, s1, s18
	s_mul_hi_u32 s1, s2, s19
	s_lshl_b64 s[22:23], s[22:23], 3
	s_mov_b32 s16, s7
	s_mov_b32 s19, s3
	v_add_nc_u32_e32 v16, v2, v0
	s_add_co_i32 s20, s2, s1
	s_mov_b32 s21, s3
	s_add_nc_u64 s[8:9], s[8:9], s[22:23]
	s_lshl_b64 s[22:23], s[14:15], 3
	s_mov_b64 s[24:25], 0xffffffff
	s_ashr_i32 s26, s13, 31
	s_ashr_i32 s28, s17, 31
	s_mov_b32 s37, 0
	s_branch .LBB12_3
.LBB12_2:                               ;   in Loop: Header=BB12_3 Depth=1
	s_or_b32 exec_lo, exec_lo, s27
	v_add_nc_u32_e32 v14, s34, v14
	s_delay_alu instid0(VALU_DEP_1) | instskip(SKIP_1) | instid1(SALU_CYCLE_1)
	v_cmp_le_i32_e32 vcc_lo, s6, v14
	s_or_b32 s37, vcc_lo, s37
	s_and_not1_b32 exec_lo, exec_lo, s37
	s_cbranch_execz .LBB12_20
.LBB12_3:                               ; =>This Loop Header: Depth=1
                                        ;     Child Loop BB12_10 Depth 2
                                        ;       Child Loop BB12_17 Depth 3
                                        ;         Child Loop BB12_19 Depth 4
	v_dual_add_nc_u32 v0, 1, v14 :: v_dual_mov_b32 v4, v1
	s_delay_alu instid0(VALU_DEP_1) | instskip(NEXT) | instid1(VALU_DEP_1)
	v_mad_nc_i64_i32 v[2:3], v0, s4, -1
	v_or_b32_e32 v5, s13, v3
	s_delay_alu instid0(VALU_DEP_1) | instskip(SKIP_1) | instid1(SALU_CYCLE_1)
	v_cmp_ne_u64_e32 vcc_lo, 0, v[4:5]
                                        ; implicit-def: $vgpr4_vgpr5
	s_and_saveexec_b32 s1, vcc_lo
	s_xor_b32 s29, exec_lo, s1
	s_cbranch_execnz .LBB12_6
; %bb.4:                                ;   in Loop: Header=BB12_3 Depth=1
	s_and_not1_saveexec_b32 s1, s29
	s_cbranch_execnz .LBB12_7
.LBB12_5:                               ;   in Loop: Header=BB12_3 Depth=1
	s_or_b32 exec_lo, exec_lo, s1
	s_and_saveexec_b32 s27, s0
	s_cbranch_execz .LBB12_2
	s_branch .LBB12_8
.LBB12_6:                               ;   in Loop: Header=BB12_3 Depth=1
	s_mov_b32 s27, s26
	v_dual_mov_b32 v9, v1 :: v_dual_ashrrev_i32 v4, 31, v3
	s_add_nc_u64 s[30:31], s[12:13], s[26:27]
	v_mov_b32_e32 v13, v1
	s_xor_b64 s[30:31], s[30:31], s[26:27]
	s_delay_alu instid0(VALU_DEP_2) | instskip(SKIP_3) | instid1(VALU_DEP_1)
	v_mov_b32_e32 v5, v4
	s_cvt_f32_u32 s1, s30
	s_cvt_f32_u32 s2, s31
	s_sub_nc_u64 s[40:41], 0, s[30:31]
	v_add_nc_u64_e32 v[2:3], v[2:3], v[4:5]
	s_delay_alu instid0(SALU_CYCLE_1) | instskip(NEXT) | instid1(SALU_CYCLE_3)
	s_fmamk_f32 s1, s2, 0x4f800000, s1
	v_s_rcp_f32 s1, s1
	s_delay_alu instid0(VALU_DEP_1) | instskip(NEXT) | instid1(VALU_DEP_2)
	v_xor_b32_e32 v0, v2, v4
	v_xor_b32_e32 v8, v3, v4
	v_xor_b32_e32 v4, s26, v4
	s_delay_alu instid0(TRANS32_DEP_1) | instskip(NEXT) | instid1(SALU_CYCLE_3)
	s_mul_f32 s1, s1, 0x5f7ffffc
	s_mul_f32 s2, s1, 0x2f800000
	s_delay_alu instid0(SALU_CYCLE_3) | instskip(NEXT) | instid1(SALU_CYCLE_3)
	s_trunc_f32 s2, s2
	s_fmamk_f32 s1, s2, 0xcf800000, s1
	s_cvt_u32_f32 s39, s2
	s_delay_alu instid0(SALU_CYCLE_2) | instskip(NEXT) | instid1(SALU_CYCLE_3)
	s_cvt_u32_f32 s38, s1
	s_mul_u64 s[42:43], s[40:41], s[38:39]
	s_delay_alu instid0(SALU_CYCLE_1)
	s_mul_hi_u32 s45, s38, s43
	s_mul_i32 s44, s38, s43
	s_mul_hi_u32 s2, s38, s42
	s_mul_i32 s27, s39, s42
	s_add_nc_u64 s[44:45], s[2:3], s[44:45]
	s_mul_hi_u32 s1, s39, s42
	s_mul_hi_u32 s46, s39, s43
	s_add_co_u32 s2, s44, s27
	s_add_co_ci_u32 s2, s45, s1
	s_mul_i32 s42, s39, s43
	s_add_co_ci_u32 s43, s46, 0
	s_delay_alu instid0(SALU_CYCLE_1) | instskip(NEXT) | instid1(SALU_CYCLE_1)
	s_add_nc_u64 s[42:43], s[2:3], s[42:43]
	s_add_co_u32 s38, s38, s42
	s_cselect_b32 s1, -1, 0
	s_delay_alu instid0(SALU_CYCLE_1) | instskip(SKIP_1) | instid1(SALU_CYCLE_1)
	s_cmp_lg_u32 s1, 0
	s_add_co_ci_u32 s39, s39, s43
	s_mul_u64 s[40:41], s[40:41], s[38:39]
	s_delay_alu instid0(SALU_CYCLE_1)
	s_mul_hi_u32 s43, s38, s41
	s_mul_i32 s42, s38, s41
	s_mul_hi_u32 s2, s38, s40
	s_mul_i32 s27, s39, s40
	s_add_nc_u64 s[42:43], s[2:3], s[42:43]
	s_mul_hi_u32 s1, s39, s40
	s_mul_hi_u32 s44, s39, s41
	s_add_co_u32 s2, s42, s27
	s_add_co_ci_u32 s2, s43, s1
	s_mul_i32 s40, s39, s41
	s_add_co_ci_u32 s41, s44, 0
	s_delay_alu instid0(SALU_CYCLE_1) | instskip(NEXT) | instid1(SALU_CYCLE_1)
	s_add_nc_u64 s[40:41], s[2:3], s[40:41]
	s_add_co_u32 s38, s38, s40
	s_cselect_b32 s1, -1, 0
	v_mul_hi_u32 v12, v0, s38
	s_cmp_lg_u32 s1, 0
	s_add_co_ci_u32 s2, s39, s41
	s_and_b64 s[40:41], s[38:39], s[24:25]
	v_mul_u64_e32 v[6:7], s[2:3], v[0:1]
	v_mul_u64_e32 v[2:3], s[40:41], v[8:9]
	v_mul_u64_e32 v[10:11], s[2:3], v[8:9]
	s_delay_alu instid0(VALU_DEP_3) | instskip(NEXT) | instid1(VALU_DEP_1)
	v_add_nc_u64_e32 v[6:7], v[12:13], v[6:7]
	v_add_co_u32 v2, vcc_lo, v6, v2
	s_delay_alu instid0(VALU_DEP_2) | instskip(NEXT) | instid1(VALU_DEP_4)
	v_add_co_ci_u32_e32 v12, vcc_lo, v7, v3, vcc_lo
	v_add_co_ci_u32_e32 v11, vcc_lo, 0, v11, vcc_lo
	s_delay_alu instid0(VALU_DEP_1) | instskip(NEXT) | instid1(VALU_DEP_1)
	v_add_nc_u64_e32 v[2:3], v[12:13], v[10:11]
	v_mul_u64_e32 v[6:7], s[30:31], v[2:3]
	s_delay_alu instid0(VALU_DEP_1) | instskip(NEXT) | instid1(VALU_DEP_2)
	v_sub_nc_u32_e32 v5, v8, v7
	v_sub_co_u32 v0, vcc_lo, v0, v6
	s_delay_alu instid0(VALU_DEP_1) | instskip(NEXT) | instid1(VALU_DEP_3)
	v_sub_co_ci_u32_e64 v10, null, v8, v7, vcc_lo
	v_subrev_co_ci_u32_e64 v5, null, s31, v5, vcc_lo
	s_delay_alu instid0(VALU_DEP_3) | instskip(SKIP_1) | instid1(VALU_DEP_3)
	v_sub_co_u32 v6, s1, v0, s30
	v_add_nc_u64_e32 v[8:9], 1, v[2:3]
	v_subrev_co_ci_u32_e64 v5, null, 0, v5, s1
	s_delay_alu instid0(VALU_DEP_3) | instskip(SKIP_1) | instid1(VALU_DEP_3)
	v_cmp_le_u32_e32 vcc_lo, s30, v6
	v_cndmask_b32_e64 v6, 0, -1, vcc_lo
	v_cmp_le_u32_e32 vcc_lo, s31, v5
	v_cndmask_b32_e64 v7, 0, -1, vcc_lo
	;; [unrolled: 2-line block ×4, first 2 shown]
	v_cmp_eq_u32_e32 vcc_lo, s31, v5
	v_cndmask_b32_e32 v5, v7, v6, vcc_lo
	v_cmp_eq_u32_e32 vcc_lo, s31, v10
	v_add_nc_u64_e32 v[6:7], 2, v[2:3]
	v_cndmask_b32_e32 v0, v11, v0, vcc_lo
	s_delay_alu instid0(VALU_DEP_4) | instskip(NEXT) | instid1(VALU_DEP_2)
	v_cmp_ne_u32_e32 vcc_lo, 0, v5
	v_cmp_ne_u32_e64 s1, 0, v0
	s_delay_alu instid0(VALU_DEP_4) | instskip(NEXT) | instid1(VALU_DEP_1)
	v_dual_cndmask_b32 v5, v9, v7 :: v_dual_cndmask_b32 v0, v8, v6
	v_dual_cndmask_b32 v3, v3, v5, s1 :: v_dual_cndmask_b32 v0, v2, v0, s1
	s_delay_alu instid0(VALU_DEP_1) | instskip(NEXT) | instid1(VALU_DEP_2)
	v_dual_mov_b32 v5, v4 :: v_dual_bitop2_b32 v3, v3, v4 bitop3:0x14
	v_xor_b32_e32 v2, v0, v4
	s_delay_alu instid0(VALU_DEP_1)
	v_sub_nc_u64_e32 v[4:5], v[2:3], v[4:5]
                                        ; implicit-def: $vgpr2_vgpr3
	s_and_not1_saveexec_b32 s1, s29
	s_cbranch_execz .LBB12_5
.LBB12_7:                               ;   in Loop: Header=BB12_3 Depth=1
	s_delay_alu instid0(VALU_DEP_3) | instskip(NEXT) | instid1(VALU_DEP_1)
	v_mul_hi_u32 v0, v2, v16
	v_mul_lo_u32 v3, v0, s12
	s_delay_alu instid0(VALU_DEP_1) | instskip(NEXT) | instid1(VALU_DEP_1)
	v_dual_sub_nc_u32 v2, v2, v3 :: v_dual_add_nc_u32 v3, 1, v0
	v_subrev_nc_u32_e32 v4, s12, v2
	v_cmp_le_u32_e32 vcc_lo, s12, v2
	s_delay_alu instid0(VALU_DEP_2) | instskip(NEXT) | instid1(VALU_DEP_1)
	v_dual_cndmask_b32 v2, v2, v4, vcc_lo :: v_dual_cndmask_b32 v0, v0, v3, vcc_lo
	v_cmp_le_u32_e32 vcc_lo, s12, v2
	s_delay_alu instid0(VALU_DEP_2) | instskip(NEXT) | instid1(VALU_DEP_1)
	v_add_nc_u32_e32 v3, 1, v0
	v_cndmask_b32_e32 v4, v0, v3, vcc_lo
	s_or_b32 exec_lo, exec_lo, s1
	s_and_saveexec_b32 s27, s0
	s_cbranch_execz .LBB12_2
.LBB12_8:                               ;   in Loop: Header=BB12_3 Depth=1
	v_sub_nc_u32_e32 v0, 0, v14
	s_mov_b32 s38, 0
	s_delay_alu instid0(VALU_DEP_1) | instskip(NEXT) | instid1(VALU_DEP_1)
	v_max_i32_e32 v0, v14, v0
	v_mul_u64_e32 v[2:3], s[18:19], v[0:1]
	s_delay_alu instid0(VALU_DEP_1) | instskip(NEXT) | instid1(VALU_DEP_1)
	v_mul_lo_u32 v2, v3, s33
	v_dual_sub_nc_u32 v0, v0, v2 :: v_dual_add_nc_u32 v2, 1, v3
	s_delay_alu instid0(VALU_DEP_1) | instskip(SKIP_1) | instid1(VALU_DEP_3)
	v_subrev_nc_u32_e32 v5, s33, v0
	v_cmp_le_u32_e32 vcc_lo, s33, v0
	v_cndmask_b32_e32 v2, v3, v2, vcc_lo
	s_delay_alu instid0(VALU_DEP_3) | instskip(NEXT) | instid1(VALU_DEP_2)
	v_dual_cndmask_b32 v0, v0, v5 :: v_dual_ashrrev_i32 v3, 31, v14
	v_add_nc_u32_e32 v5, 1, v2
	s_delay_alu instid0(VALU_DEP_2) | instskip(NEXT) | instid1(VALU_DEP_2)
	v_cmp_le_u32_e32 vcc_lo, s33, v0
	v_dual_cndmask_b32 v0, v2, v5, vcc_lo :: v_dual_bitop2_b32 v3, s13, v3 bitop3:0x14
	s_delay_alu instid0(VALU_DEP_1) | instskip(NEXT) | instid1(VALU_DEP_1)
	v_xor_b32_e32 v0, v0, v3
	v_sub_nc_u32_e32 v5, v0, v3
	s_delay_alu instid0(VALU_DEP_1) | instskip(NEXT) | instid1(VALU_DEP_1)
	v_mul_lo_u32 v0, v5, s6
	v_sub_nc_u32_e32 v0, v14, v0
	s_delay_alu instid0(VALU_DEP_1) | instskip(NEXT) | instid1(VALU_DEP_1)
	v_mul_lo_u32 v6, v0, s4
	v_sub_nc_u32_e32 v0, 0, v6
	s_delay_alu instid0(VALU_DEP_1) | instskip(NEXT) | instid1(VALU_DEP_1)
	v_max_i32_e32 v0, v6, v0
	v_mul_u64_e32 v[2:3], s[18:19], v[0:1]
	s_delay_alu instid0(VALU_DEP_1) | instskip(NEXT) | instid1(VALU_DEP_1)
	v_mul_lo_u32 v2, v3, s33
	v_dual_sub_nc_u32 v0, v0, v2 :: v_dual_add_nc_u32 v2, 1, v3
	s_delay_alu instid0(VALU_DEP_1) | instskip(NEXT) | instid1(VALU_DEP_2)
	v_cmp_le_u32_e32 vcc_lo, s33, v0
	v_cndmask_b32_e32 v2, v3, v2, vcc_lo
	v_ashrrev_i32_e32 v3, 31, v6
	s_delay_alu instid0(VALU_DEP_2) | instskip(SKIP_1) | instid1(VALU_DEP_1)
	v_add_nc_u32_e32 v6, 1, v2
	v_subrev_nc_u32_e32 v7, s33, v0
	v_cndmask_b32_e32 v0, v0, v7, vcc_lo
	s_delay_alu instid0(VALU_DEP_1) | instskip(NEXT) | instid1(VALU_DEP_4)
	v_cmp_le_u32_e32 vcc_lo, s33, v0
	v_dual_cndmask_b32 v0, v2, v6, vcc_lo :: v_dual_bitop2_b32 v3, s13, v3 bitop3:0x14
	s_delay_alu instid0(VALU_DEP_1) | instskip(NEXT) | instid1(VALU_DEP_1)
	v_xor_b32_e32 v0, v0, v3
	v_sub_nc_u32_e32 v0, v0, v3
	s_delay_alu instid0(VALU_DEP_1) | instskip(NEXT) | instid1(VALU_DEP_1)
	v_mad_u32 v0, v5, s4, v0
	v_sub_nc_u32_e32 v17, v4, v0
	v_mul_lo_u32 v6, v0, s5
	v_mov_b32_e32 v0, v15
	v_mul_lo_u32 v4, v14, s7
	s_delay_alu instid0(VALU_DEP_4) | instskip(SKIP_1) | instid1(VALU_DEP_2)
	v_add_nc_u32_e32 v2, 1, v17
	v_cmp_gt_u32_e64 s1, 0x7fffffff, v17
	v_cvt_f64_i32_e32 v[2:3], v2
	s_delay_alu instid0(VALU_DEP_4) | instskip(NEXT) | instid1(VALU_DEP_1)
	v_dual_ashrrev_i32 v7, 31, v6 :: v_dual_ashrrev_i32 v5, 31, v4
	v_lshl_add_u64 v[6:7], v[6:7], 3, s[8:9]
	s_delay_alu instid0(VALU_DEP_2)
	v_lshl_add_u64 v[4:5], v[4:5], 3, s[10:11]
	s_branch .LBB12_10
.LBB12_9:                               ;   in Loop: Header=BB12_10 Depth=2
	s_or_b32 exec_lo, exec_lo, s29
	v_add_nc_u32_e32 v0, s36, v0
	s_delay_alu instid0(VALU_DEP_1) | instskip(SKIP_1) | instid1(SALU_CYCLE_1)
	v_cmp_le_i32_e32 vcc_lo, s7, v0
	s_or_b32 s38, vcc_lo, s38
	s_and_not1_b32 exec_lo, exec_lo, s38
	s_cbranch_execz .LBB12_2
.LBB12_10:                              ;   Parent Loop BB12_3 Depth=1
                                        ; =>  This Loop Header: Depth=2
                                        ;       Child Loop BB12_17 Depth 3
                                        ;         Child Loop BB12_19 Depth 4
	v_add_nc_u32_e32 v8, 1, v0
	s_delay_alu instid0(VALU_DEP_1) | instskip(NEXT) | instid1(VALU_DEP_1)
	v_mad_nc_u64_u32 v[10:11], v8, s14, -1
	v_mad_u32 v11, v8, s15, v11
	s_delay_alu instid0(VALU_DEP_1) | instskip(NEXT) | instid1(VALU_DEP_1)
	v_dual_mov_b32 v8, v1 :: v_dual_bitop2_b32 v9, s17, v11 bitop3:0x54
	v_cmp_ne_u64_e32 vcc_lo, 0, v[8:9]
                                        ; implicit-def: $vgpr8_vgpr9
	s_and_saveexec_b32 s2, vcc_lo
	s_delay_alu instid0(SALU_CYCLE_1)
	s_xor_b32 s39, exec_lo, s2
	s_cbranch_execnz .LBB12_13
; %bb.11:                               ;   in Loop: Header=BB12_10 Depth=2
	s_and_not1_saveexec_b32 s2, s39
	s_cbranch_execnz .LBB12_14
.LBB12_12:                              ;   in Loop: Header=BB12_10 Depth=2
	s_or_b32 exec_lo, exec_lo, s2
	s_and_saveexec_b32 s29, s1
	s_cbranch_execz .LBB12_9
	s_branch .LBB12_15
.LBB12_13:                              ;   in Loop: Header=BB12_10 Depth=2
	s_mov_b32 s29, s28
	v_dual_mov_b32 v13, v1 :: v_dual_ashrrev_i32 v8, 31, v11
	s_add_nc_u64 s[30:31], s[16:17], s[28:29]
	s_delay_alu instid0(SALU_CYCLE_1) | instskip(NEXT) | instid1(VALU_DEP_1)
	s_xor_b64 s[30:31], s[30:31], s[28:29]
	v_mov_b32_e32 v9, v8
	s_cvt_f32_u32 s2, s30
	s_cvt_f32_u32 s29, s31
	s_sub_nc_u64 s[42:43], 0, s[30:31]
	s_delay_alu instid0(VALU_DEP_1) | instskip(NEXT) | instid1(SALU_CYCLE_1)
	v_add_nc_u64_e32 v[10:11], v[10:11], v[8:9]
	s_fmamk_f32 s2, s29, 0x4f800000, s2
	v_mov_b32_e32 v21, v1
	s_delay_alu instid0(SALU_CYCLE_2) | instskip(NEXT) | instid1(VALU_DEP_2)
	v_s_rcp_f32 s2, s2
	v_xor_b32_e32 v12, v10, v8
	s_delay_alu instid0(VALU_DEP_3) | instskip(SKIP_1) | instid1(TRANS32_DEP_1)
	v_dual_mov_b32 v25, v1 :: v_dual_bitop2_b32 v20, v11, v8 bitop3:0x14
	v_xor_b32_e32 v8, s28, v8
	s_mul_f32 s2, s2, 0x5f7ffffc
	s_delay_alu instid0(SALU_CYCLE_3) | instskip(NEXT) | instid1(SALU_CYCLE_3)
	s_mul_f32 s29, s2, 0x2f800000
	s_trunc_f32 s29, s29
	s_delay_alu instid0(SALU_CYCLE_3) | instskip(SKIP_1) | instid1(SALU_CYCLE_2)
	s_fmamk_f32 s2, s29, 0xcf800000, s2
	s_cvt_u32_f32 s41, s29
	s_cvt_u32_f32 s40, s2
	s_delay_alu instid0(SALU_CYCLE_3) | instskip(NEXT) | instid1(SALU_CYCLE_1)
	s_mul_u64 s[44:45], s[42:43], s[40:41]
	s_mul_hi_u32 s47, s40, s45
	s_mul_i32 s46, s40, s45
	s_mul_hi_u32 s2, s40, s44
	s_mul_i32 s48, s41, s44
	s_add_nc_u64 s[46:47], s[2:3], s[46:47]
	s_mul_hi_u32 s29, s41, s44
	s_mul_hi_u32 s49, s41, s45
	s_add_co_u32 s2, s46, s48
	s_add_co_ci_u32 s2, s47, s29
	s_mul_i32 s44, s41, s45
	s_add_co_ci_u32 s45, s49, 0
	s_delay_alu instid0(SALU_CYCLE_1) | instskip(NEXT) | instid1(SALU_CYCLE_1)
	s_add_nc_u64 s[44:45], s[2:3], s[44:45]
	s_add_co_u32 s40, s40, s44
	s_cselect_b32 s2, -1, 0
	s_delay_alu instid0(SALU_CYCLE_1) | instskip(SKIP_1) | instid1(SALU_CYCLE_1)
	s_cmp_lg_u32 s2, 0
	s_add_co_ci_u32 s41, s41, s45
	s_mul_u64 s[42:43], s[42:43], s[40:41]
	s_delay_alu instid0(SALU_CYCLE_1)
	s_mul_hi_u32 s45, s40, s43
	s_mul_i32 s44, s40, s43
	s_mul_hi_u32 s2, s40, s42
	s_mul_i32 s46, s41, s42
	s_add_nc_u64 s[44:45], s[2:3], s[44:45]
	s_mul_hi_u32 s29, s41, s42
	s_mul_hi_u32 s47, s41, s43
	s_add_co_u32 s2, s44, s46
	s_add_co_ci_u32 s2, s45, s29
	s_mul_i32 s42, s41, s43
	s_add_co_ci_u32 s43, s47, 0
	s_delay_alu instid0(SALU_CYCLE_1) | instskip(NEXT) | instid1(SALU_CYCLE_1)
	s_add_nc_u64 s[42:43], s[2:3], s[42:43]
	s_add_co_u32 s40, s40, s42
	s_cselect_b32 s2, -1, 0
	v_mul_hi_u32 v24, v12, s40
	s_cmp_lg_u32 s2, 0
	s_add_co_ci_u32 s2, s41, s43
	s_and_b64 s[42:43], s[40:41], s[24:25]
	v_mul_u64_e32 v[18:19], s[2:3], v[12:13]
	v_mul_u64_e32 v[10:11], s[42:43], v[20:21]
	;; [unrolled: 1-line block ×3, first 2 shown]
	s_delay_alu instid0(VALU_DEP_3) | instskip(NEXT) | instid1(VALU_DEP_1)
	v_add_nc_u64_e32 v[18:19], v[24:25], v[18:19]
	v_add_co_u32 v9, vcc_lo, v18, v10
	s_delay_alu instid0(VALU_DEP_2) | instskip(NEXT) | instid1(VALU_DEP_4)
	v_add_co_ci_u32_e32 v24, vcc_lo, v19, v11, vcc_lo
	v_add_co_ci_u32_e32 v23, vcc_lo, 0, v23, vcc_lo
	s_delay_alu instid0(VALU_DEP_1) | instskip(NEXT) | instid1(VALU_DEP_1)
	v_add_nc_u64_e32 v[10:11], v[24:25], v[22:23]
	v_mul_u64_e32 v[18:19], s[30:31], v[10:11]
	s_delay_alu instid0(VALU_DEP_1) | instskip(NEXT) | instid1(VALU_DEP_2)
	v_sub_nc_u32_e32 v9, v20, v19
	v_sub_co_u32 v12, vcc_lo, v12, v18
	s_delay_alu instid0(VALU_DEP_1) | instskip(NEXT) | instid1(VALU_DEP_3)
	v_sub_co_ci_u32_e64 v20, null, v20, v19, vcc_lo
	v_subrev_co_ci_u32_e64 v9, null, s31, v9, vcc_lo
	s_delay_alu instid0(VALU_DEP_3) | instskip(NEXT) | instid1(VALU_DEP_1)
	v_sub_co_u32 v13, s2, v12, s30
	v_subrev_co_ci_u32_e64 v9, null, 0, v9, s2
	s_delay_alu instid0(VALU_DEP_2) | instskip(SKIP_1) | instid1(VALU_DEP_3)
	v_cmp_le_u32_e32 vcc_lo, s30, v13
	v_cndmask_b32_e64 v13, 0, -1, vcc_lo
	v_cmp_le_u32_e32 vcc_lo, s31, v9
	v_cndmask_b32_e64 v18, 0, -1, vcc_lo
	;; [unrolled: 2-line block ×4, first 2 shown]
	v_cmp_eq_u32_e32 vcc_lo, s31, v9
	v_cndmask_b32_e32 v9, v18, v13, vcc_lo
	v_cmp_eq_u32_e32 vcc_lo, s31, v20
	v_add_nc_u64_e32 v[12:13], 2, v[10:11]
	v_add_nc_u64_e32 v[18:19], 1, v[10:11]
	v_cndmask_b32_e32 v20, v22, v21, vcc_lo
	v_cmp_ne_u32_e32 vcc_lo, 0, v9
	s_delay_alu instid0(VALU_DEP_2) | instskip(NEXT) | instid1(VALU_DEP_4)
	v_cmp_ne_u32_e64 s2, 0, v20
	v_dual_cndmask_b32 v12, v18, v12 :: v_dual_cndmask_b32 v9, v19, v13
	s_delay_alu instid0(VALU_DEP_1) | instskip(NEXT) | instid1(VALU_DEP_1)
	v_dual_cndmask_b32 v10, v10, v12, s2 :: v_dual_cndmask_b32 v11, v11, v9, s2
	v_dual_mov_b32 v9, v8 :: v_dual_bitop2_b32 v10, v10, v8 bitop3:0x14
	s_delay_alu instid0(VALU_DEP_2) | instskip(NEXT) | instid1(VALU_DEP_1)
	v_xor_b32_e32 v11, v11, v8
	v_sub_nc_u64_e32 v[8:9], v[10:11], v[8:9]
                                        ; implicit-def: $vgpr10_vgpr11
	s_and_not1_saveexec_b32 s2, s39
	s_cbranch_execz .LBB12_12
.LBB12_14:                              ;   in Loop: Header=BB12_10 Depth=2
	v_cvt_f32_u32_e32 v8, s16
	s_sub_co_i32 s29, 0, s16
	s_delay_alu instid0(VALU_DEP_1) | instskip(SKIP_1) | instid1(TRANS32_DEP_1)
	v_rcp_iflag_f32_e32 v8, v8
	v_nop
	v_mul_f32_e32 v8, 0x4f7ffffe, v8
	s_delay_alu instid0(VALU_DEP_1) | instskip(NEXT) | instid1(VALU_DEP_1)
	v_cvt_u32_f32_e32 v8, v8
	v_mul_lo_u32 v9, s29, v8
	s_delay_alu instid0(VALU_DEP_1) | instskip(NEXT) | instid1(VALU_DEP_1)
	v_mul_hi_u32 v9, v8, v9
	v_add_nc_u32_e32 v8, v8, v9
	s_delay_alu instid0(VALU_DEP_1) | instskip(NEXT) | instid1(VALU_DEP_1)
	v_mul_hi_u32 v8, v10, v8
	v_mul_lo_u32 v9, v8, s16
	s_delay_alu instid0(VALU_DEP_1) | instskip(NEXT) | instid1(VALU_DEP_1)
	v_dual_sub_nc_u32 v9, v10, v9 :: v_dual_add_nc_u32 v10, 1, v8
	v_subrev_nc_u32_e32 v11, s16, v9
	v_cmp_le_u32_e32 vcc_lo, s16, v9
	s_delay_alu instid0(VALU_DEP_2) | instskip(NEXT) | instid1(VALU_DEP_1)
	v_dual_cndmask_b32 v9, v9, v11 :: v_dual_cndmask_b32 v8, v8, v10
	v_cmp_le_u32_e32 vcc_lo, s16, v9
	s_delay_alu instid0(VALU_DEP_2) | instskip(NEXT) | instid1(VALU_DEP_1)
	v_add_nc_u32_e32 v10, 1, v8
	v_cndmask_b32_e32 v8, v8, v10, vcc_lo
	s_or_b32 exec_lo, exec_lo, s2
	s_and_saveexec_b32 s29, s1
	s_cbranch_execz .LBB12_9
.LBB12_15:                              ;   in Loop: Header=BB12_10 Depth=2
	v_lshl_add_u64 v[10:11], v[0:1], 3, v[4:5]
	v_mul_u64_e32 v[12:13], s[20:21], v[0:1]
	v_mul_lo_u32 v9, v0, s5
	s_mov_b32 s30, 0
	s_mov_b32 s31, 0
	global_load_b64 v[10:11], v[10:11], off
	v_dual_mov_b32 v19, v1 :: v_dual_sub_nc_u32 v12, 0, v9
	s_delay_alu instid0(VALU_DEP_1) | instskip(SKIP_1) | instid1(VALU_DEP_1)
	v_dual_ashrrev_i32 v9, 31, v9 :: v_dual_max_i32 v18, v9, v12
	v_mul_lo_u32 v12, v13, s35
	v_sub_nc_u32_e32 v12, v0, v12
	s_delay_alu instid0(VALU_DEP_3) | instskip(NEXT) | instid1(VALU_DEP_2)
	v_mul_u64_e32 v[20:21], s[20:21], v[18:19]
	v_subrev_nc_u32_e32 v22, s35, v12
	v_cmp_le_u32_e32 vcc_lo, s35, v12
	s_delay_alu instid0(VALU_DEP_2) | instskip(NEXT) | instid1(VALU_DEP_4)
	v_dual_cndmask_b32 v12, v12, v22 :: v_dual_add_nc_u32 v19, 1, v13
	v_mul_lo_u32 v20, v21, s35
	s_delay_alu instid0(VALU_DEP_2) | instskip(NEXT) | instid1(VALU_DEP_3)
	v_cndmask_b32_e32 v13, v13, v19, vcc_lo
	v_cmp_le_u32_e32 vcc_lo, s35, v12
	s_delay_alu instid0(VALU_DEP_2) | instskip(NEXT) | instid1(VALU_DEP_1)
	v_dual_sub_nc_u32 v18, v18, v20 :: v_dual_add_nc_u32 v19, 1, v13
	v_dual_add_nc_u32 v20, 1, v21 :: v_dual_cndmask_b32 v12, v13, v19, vcc_lo
	s_delay_alu instid0(VALU_DEP_2) | instskip(SKIP_1) | instid1(VALU_DEP_3)
	v_subrev_nc_u32_e32 v13, s35, v18
	v_cmp_le_u32_e32 vcc_lo, s35, v18
	v_xor_b32_e32 v12, s17, v12
	s_delay_alu instid0(VALU_DEP_3) | instskip(NEXT) | instid1(VALU_DEP_2)
	v_dual_cndmask_b32 v19, v21, v20, vcc_lo :: v_dual_cndmask_b32 v13, v18, v13, vcc_lo
	v_subrev_nc_u32_e32 v12, s17, v12
	s_delay_alu instid0(VALU_DEP_2) | instskip(NEXT) | instid1(VALU_DEP_3)
	v_add_nc_u32_e32 v18, 1, v19
	v_cmp_le_u32_e32 vcc_lo, s35, v13
	v_xor_b32_e32 v9, s17, v9
	s_delay_alu instid0(VALU_DEP_4) | instskip(NEXT) | instid1(VALU_DEP_4)
	v_mul_lo_u32 v28, v12, s5
	v_cndmask_b32_e32 v13, v19, v18, vcc_lo
	s_delay_alu instid0(VALU_DEP_1) | instskip(NEXT) | instid1(VALU_DEP_1)
	v_xor_b32_e32 v13, v13, v9
	v_sub_nc_u32_e32 v12, v13, v9
	s_delay_alu instid0(VALU_DEP_1) | instskip(NEXT) | instid1(VALU_DEP_1)
	v_add_nc_u32_e32 v12, v12, v28
	v_sub_nc_u32_e32 v29, v8, v12
	v_add_nc_u32_e32 v8, v9, v8
	s_delay_alu instid0(VALU_DEP_1) | instskip(NEXT) | instid1(VALU_DEP_1)
	v_sub_nc_u32_e32 v8, v8, v28
	v_sub_nc_u32_e32 v8, v8, v13
	s_delay_alu instid0(VALU_DEP_4) | instskip(NEXT) | instid1(VALU_DEP_1)
	v_dual_add_nc_u32 v18, 1, v29 :: v_dual_ashrrev_i32 v13, 31, v12
	v_cvt_f64_i32_e32 v[18:19], v18
	s_wait_loadcnt 0x0
	s_delay_alu instid0(VALU_DEP_1) | instskip(SKIP_1) | instid1(VALU_DEP_2)
	v_div_scale_f64 v[20:21], null, v[18:19], v[18:19], v[10:11]
	v_div_scale_f64 v[26:27], vcc_lo, v[10:11], v[18:19], v[10:11]
	v_rcp_f64_e32 v[22:23], v[20:21]
	v_nop
	s_delay_alu instid0(TRANS32_DEP_1) | instskip(NEXT) | instid1(VALU_DEP_1)
	v_fma_f64 v[24:25], -v[20:21], v[22:23], 1.0
	v_fmac_f64_e32 v[22:23], v[22:23], v[24:25]
	s_delay_alu instid0(VALU_DEP_1) | instskip(NEXT) | instid1(VALU_DEP_1)
	v_fma_f64 v[24:25], -v[20:21], v[22:23], 1.0
	v_fmac_f64_e32 v[22:23], v[22:23], v[24:25]
	s_delay_alu instid0(VALU_DEP_1) | instskip(NEXT) | instid1(VALU_DEP_1)
	v_mul_f64_e32 v[24:25], v[26:27], v[22:23]
	v_fma_f64 v[20:21], -v[20:21], v[24:25], v[26:27]
	s_delay_alu instid0(VALU_DEP_1) | instskip(SKIP_1) | instid1(VALU_DEP_1)
	v_div_fmas_f64 v[20:21], v[20:21], v[22:23], v[24:25]
	s_wait_xcnt 0x0
	v_div_fixup_f64 v[10:11], v[20:21], v[18:19], v[10:11]
	s_delay_alu instid0(VALU_DEP_1) | instskip(NEXT) | instid1(VALU_DEP_1)
	v_div_scale_f64 v[18:19], null, v[2:3], v[2:3], v[10:11]
	v_rcp_f64_e32 v[20:21], v[18:19]
	v_nop
	s_delay_alu instid0(TRANS32_DEP_1) | instskip(NEXT) | instid1(VALU_DEP_1)
	v_fma_f64 v[22:23], -v[18:19], v[20:21], 1.0
	v_fmac_f64_e32 v[20:21], v[20:21], v[22:23]
	s_delay_alu instid0(VALU_DEP_1) | instskip(NEXT) | instid1(VALU_DEP_1)
	v_fma_f64 v[22:23], -v[18:19], v[20:21], 1.0
	v_fmac_f64_e32 v[20:21], v[20:21], v[22:23]
	v_div_scale_f64 v[22:23], vcc_lo, v[10:11], v[2:3], v[10:11]
	s_delay_alu instid0(VALU_DEP_1) | instskip(NEXT) | instid1(VALU_DEP_1)
	v_mul_f64_e32 v[24:25], v[22:23], v[20:21]
	v_fma_f64 v[18:19], -v[18:19], v[24:25], v[22:23]
	s_delay_alu instid0(VALU_DEP_1) | instskip(SKIP_1) | instid1(VALU_DEP_2)
	v_div_fmas_f64 v[18:19], v[18:19], v[20:21], v[24:25]
	v_cmp_gt_u32_e32 vcc_lo, 0x7fffffff, v29
	v_div_fixup_f64 v[10:11], v[18:19], v[2:3], v[10:11]
	v_add_nc_u32_e32 v18, 1, v8
	v_lshl_add_u64 v[8:9], v[12:13], 3, v[6:7]
	s_branch .LBB12_17
.LBB12_16:                              ;   in Loop: Header=BB12_17 Depth=3
	s_or_b32 exec_lo, exec_lo, s39
	v_cmp_eq_u32_e64 s2, s31, v17
	v_add_nc_u64_e32 v[8:9], s[22:23], v[8:9]
	s_add_co_i32 s31, s31, 1
	s_or_b32 s30, s2, s30
	s_delay_alu instid0(SALU_CYCLE_1)
	s_and_not1_b32 exec_lo, exec_lo, s30
	s_cbranch_execz .LBB12_9
.LBB12_17:                              ;   Parent Loop BB12_3 Depth=1
                                        ;     Parent Loop BB12_10 Depth=2
                                        ; =>    This Loop Header: Depth=3
                                        ;         Child Loop BB12_19 Depth 4
	s_and_saveexec_b32 s39, vcc_lo
	s_cbranch_execz .LBB12_16
; %bb.18:                               ;   in Loop: Header=BB12_17 Depth=3
	s_delay_alu instid0(VALU_DEP_1)
	v_mov_b64_e32 v[12:13], v[8:9]
	v_mov_b32_e32 v19, v18
	s_mov_b32 s40, 0
.LBB12_19:                              ;   Parent Loop BB12_3 Depth=1
                                        ;     Parent Loop BB12_10 Depth=2
                                        ;       Parent Loop BB12_17 Depth=3
                                        ; =>      This Inner Loop Header: Depth=4
	global_atomic_add_f64 v[12:13], v[10:11], off scope:SCOPE_DEV
	v_add_nc_u32_e32 v19, -1, v19
	s_wait_xcnt 0x0
	v_add_nc_u64_e32 v[12:13], 8, v[12:13]
	s_delay_alu instid0(VALU_DEP_2) | instskip(SKIP_1) | instid1(SALU_CYCLE_1)
	v_cmp_eq_u32_e64 s2, 0, v19
	s_or_b32 s40, s2, s40
	s_and_not1_b32 exec_lo, exec_lo, s40
	s_cbranch_execnz .LBB12_19
	s_branch .LBB12_16
.LBB12_20:
	s_endpgm
	.section	.rodata,"a",@progbits
	.p2align	6, 0x0
	.amdhsa_kernel _ZN2at6native12_GLOBAL__N_133atomic_adaptive_average_gradinputIdEEvPT_PKS3_iiii
		.amdhsa_group_segment_fixed_size 0
		.amdhsa_private_segment_fixed_size 0
		.amdhsa_kernarg_size 288
		.amdhsa_user_sgpr_count 2
		.amdhsa_user_sgpr_dispatch_ptr 0
		.amdhsa_user_sgpr_queue_ptr 0
		.amdhsa_user_sgpr_kernarg_segment_ptr 1
		.amdhsa_user_sgpr_dispatch_id 0
		.amdhsa_user_sgpr_kernarg_preload_length 0
		.amdhsa_user_sgpr_kernarg_preload_offset 0
		.amdhsa_user_sgpr_private_segment_size 0
		.amdhsa_wavefront_size32 1
		.amdhsa_uses_dynamic_stack 0
		.amdhsa_enable_private_segment 0
		.amdhsa_system_sgpr_workgroup_id_x 1
		.amdhsa_system_sgpr_workgroup_id_y 1
		.amdhsa_system_sgpr_workgroup_id_z 0
		.amdhsa_system_sgpr_workgroup_info 0
		.amdhsa_system_vgpr_workitem_id 1
		.amdhsa_next_free_vgpr 30
		.amdhsa_next_free_sgpr 50
		.amdhsa_named_barrier_count 0
		.amdhsa_reserve_vcc 1
		.amdhsa_float_round_mode_32 0
		.amdhsa_float_round_mode_16_64 0
		.amdhsa_float_denorm_mode_32 3
		.amdhsa_float_denorm_mode_16_64 3
		.amdhsa_fp16_overflow 0
		.amdhsa_memory_ordered 1
		.amdhsa_forward_progress 1
		.amdhsa_inst_pref_size 24
		.amdhsa_round_robin_scheduling 0
		.amdhsa_exception_fp_ieee_invalid_op 0
		.amdhsa_exception_fp_denorm_src 0
		.amdhsa_exception_fp_ieee_div_zero 0
		.amdhsa_exception_fp_ieee_overflow 0
		.amdhsa_exception_fp_ieee_underflow 0
		.amdhsa_exception_fp_ieee_inexact 0
		.amdhsa_exception_int_div_zero 0
	.end_amdhsa_kernel
	.section	.text._ZN2at6native12_GLOBAL__N_133atomic_adaptive_average_gradinputIdEEvPT_PKS3_iiii,"axG",@progbits,_ZN2at6native12_GLOBAL__N_133atomic_adaptive_average_gradinputIdEEvPT_PKS3_iiii,comdat
.Lfunc_end12:
	.size	_ZN2at6native12_GLOBAL__N_133atomic_adaptive_average_gradinputIdEEvPT_PKS3_iiii, .Lfunc_end12-_ZN2at6native12_GLOBAL__N_133atomic_adaptive_average_gradinputIdEEvPT_PKS3_iiii
                                        ; -- End function
	.set _ZN2at6native12_GLOBAL__N_133atomic_adaptive_average_gradinputIdEEvPT_PKS3_iiii.num_vgpr, 30
	.set _ZN2at6native12_GLOBAL__N_133atomic_adaptive_average_gradinputIdEEvPT_PKS3_iiii.num_agpr, 0
	.set _ZN2at6native12_GLOBAL__N_133atomic_adaptive_average_gradinputIdEEvPT_PKS3_iiii.numbered_sgpr, 50
	.set _ZN2at6native12_GLOBAL__N_133atomic_adaptive_average_gradinputIdEEvPT_PKS3_iiii.num_named_barrier, 0
	.set _ZN2at6native12_GLOBAL__N_133atomic_adaptive_average_gradinputIdEEvPT_PKS3_iiii.private_seg_size, 0
	.set _ZN2at6native12_GLOBAL__N_133atomic_adaptive_average_gradinputIdEEvPT_PKS3_iiii.uses_vcc, 1
	.set _ZN2at6native12_GLOBAL__N_133atomic_adaptive_average_gradinputIdEEvPT_PKS3_iiii.uses_flat_scratch, 0
	.set _ZN2at6native12_GLOBAL__N_133atomic_adaptive_average_gradinputIdEEvPT_PKS3_iiii.has_dyn_sized_stack, 0
	.set _ZN2at6native12_GLOBAL__N_133atomic_adaptive_average_gradinputIdEEvPT_PKS3_iiii.has_recursion, 0
	.set _ZN2at6native12_GLOBAL__N_133atomic_adaptive_average_gradinputIdEEvPT_PKS3_iiii.has_indirect_call, 0
	.section	.AMDGPU.csdata,"",@progbits
; Kernel info:
; codeLenInByte = 2968
; TotalNumSgprs: 52
; NumVgprs: 30
; ScratchSize: 0
; MemoryBound: 0
; FloatMode: 240
; IeeeMode: 1
; LDSByteSize: 0 bytes/workgroup (compile time only)
; SGPRBlocks: 0
; VGPRBlocks: 1
; NumSGPRsForWavesPerEU: 52
; NumVGPRsForWavesPerEU: 30
; NamedBarCnt: 0
; Occupancy: 16
; WaveLimiterHint : 0
; COMPUTE_PGM_RSRC2:SCRATCH_EN: 0
; COMPUTE_PGM_RSRC2:USER_SGPR: 2
; COMPUTE_PGM_RSRC2:TRAP_HANDLER: 0
; COMPUTE_PGM_RSRC2:TGID_X_EN: 1
; COMPUTE_PGM_RSRC2:TGID_Y_EN: 1
; COMPUTE_PGM_RSRC2:TGID_Z_EN: 0
; COMPUTE_PGM_RSRC2:TIDIG_COMP_CNT: 1
	.section	.text._ZN2at6native12_GLOBAL__N_126adaptive_average_gradinputIdEEvPT_PKS3_iiii,"axG",@progbits,_ZN2at6native12_GLOBAL__N_126adaptive_average_gradinputIdEEvPT_PKS3_iiii,comdat
	.globl	_ZN2at6native12_GLOBAL__N_126adaptive_average_gradinputIdEEvPT_PKS3_iiii ; -- Begin function _ZN2at6native12_GLOBAL__N_126adaptive_average_gradinputIdEEvPT_PKS3_iiii
	.p2align	8
	.type	_ZN2at6native12_GLOBAL__N_126adaptive_average_gradinputIdEEvPT_PKS3_iiii,@function
_ZN2at6native12_GLOBAL__N_126adaptive_average_gradinputIdEEvPT_PKS3_iiii: ; @_ZN2at6native12_GLOBAL__N_126adaptive_average_gradinputIdEEvPT_PKS3_iiii
; %bb.0:
	s_clause 0x1
	s_load_b32 s8, s[0:1], 0x2c
	s_load_b128 s[4:7], s[0:1], 0x10
	s_bfe_u32 s2, ttmp6, 0x40010
	s_bfe_u32 s3, ttmp6, 0x40004
	s_add_co_i32 s2, s2, 1
	s_getreg_b32 s10, hwreg(HW_REG_IB_STS2, 6, 4)
	s_mul_i32 s2, ttmp7, s2
	v_bfe_u32 v1, v0, 10, 10
	s_add_co_i32 s3, s3, s2
	s_mov_b32 s9, 0
	s_wait_kmcnt 0x0
	s_lshr_b32 s14, s8, 16
	s_cmp_eq_u32 s10, 0
	s_cselect_b32 s2, ttmp7, s3
	s_delay_alu instid0(SALU_CYCLE_1) | instskip(SKIP_1) | instid1(VALU_DEP_1)
	v_mad_u32 v16, s2, s14, v1
	s_mov_b32 s2, exec_lo
	v_cmpx_gt_i32_e64 s4, v16
	s_cbranch_execz .LBB13_28
; %bb.1:
	s_add_nc_u64 s[12:13], s[0:1], 32
	s_load_b128 s[0:3], s[0:1], 0x0
	s_bfe_u32 s11, ttmp6, 0x4000c
	s_load_b32 s40, s[12:13], 0x4
	s_add_co_i32 s11, s11, 1
	s_wait_xcnt 0x0
	s_and_b32 s12, ttmp6, 15
	s_mul_i32 s11, ttmp9, s11
	v_and_b32_e32 v17, 0x3ff, v0
	s_add_co_i32 s12, s12, s11
	s_cmp_eq_u32 s10, 0
	s_mov_b32 s16, s4
	s_cselect_b32 s10, ttmp9, s12
	s_abs_i32 s33, s4
	s_mul_i32 s12, s4, s10
	s_cvt_f32_u32 s15, s33
	s_mul_i32 s12, s12, s5
	s_abs_i32 s41, s5
	s_ashr_i32 s13, s12, 31
	s_mul_i32 s11, s6, s10
	s_lshl_b64 s[12:13], s[12:13], 3
	v_rcp_iflag_f32_e32 v0, s15
	s_wait_kmcnt 0x0
	s_add_nc_u64 s[12:13], s[0:1], s[12:13]
	s_cvt_f32_u32 s0, s41
	s_mul_i32 s10, s11, s7
	s_abs_i32 s43, s6
	s_ashr_i32 s11, s10, 31
	v_rcp_iflag_f32_e32 v1, s0
	s_lshl_b64 s[10:11], s[10:11], 3
	v_readfirstlane_b32 s1, v0
	s_add_nc_u64 s[10:11], s[2:3], s[10:11]
	s_cvt_f32_u32 s3, s43
	s_abs_i32 s44, s7
	s_and_b32 s42, s8, 0xffff
	v_readfirstlane_b32 s2, v1
	s_mul_f32 s1, s1, 0x4f7ffffe
	v_rcp_iflag_f32_e32 v0, s3
	s_cvt_f32_u32 s8, s44
	s_sub_co_i32 s3, 0, s33
	s_cvt_u32_f32 s1, s1
	s_mul_f32 s2, s2, 0x4f7ffffe
	v_rcp_iflag_f32_e32 v1, s8
	s_sub_co_i32 s22, 0, s41
	v_nop
	v_readfirstlane_b32 s8, v0
	s_mul_i32 s3, s3, s1
	s_cvt_u32_f32 s2, s2
	v_cvt_f32_u32_e32 v0, s16
	s_mul_hi_u32 s3, s1, s3
	v_cmp_gt_i32_e64 s0, s5, v17
	s_mul_i32 s23, s22, s2
	s_add_co_i32 s22, s1, s3
	s_mul_f32 s3, s8, 0x4f7ffffe
	v_readfirstlane_b32 s8, v1
	v_rcp_iflag_f32_e32 v0, v0
	s_mul_hi_u32 s1, s2, s23
	s_ashr_i32 s17, s4, 31
	s_add_co_i32 s24, s2, s1
	s_cvt_u32_f32 s1, s3
	s_mul_f32 s3, s8, 0x4f7ffffe
	s_sub_co_i32 s2, 0, s43
	v_nop
	v_dual_mul_f32 v1, 0x4f7ffffe, v0 :: v_dual_mov_b32 v0, 0
	s_cvt_u32_f32 s3, s3
	s_mul_i32 s2, s2, s1
	s_sub_co_i32 s8, 0, s44
	s_mul_hi_u32 s2, s1, s2
	s_mul_i32 s8, s8, s3
	v_cvt_u32_f32_e32 v18, v1
	s_add_co_i32 s26, s1, s2
	s_mul_hi_u32 s1, s3, s8
	s_mul_i32 s40, s40, s14
	s_ashr_i32 s15, s6, 31
	s_mov_b32 s14, s6
	s_ashr_i32 s19, s7, 31
	s_mov_b32 s18, s7
	;; [unrolled: 2-line block ×3, first 2 shown]
	s_mov_b32 s23, s9
	s_mov_b32 s25, s9
	;; [unrolled: 1-line block ×3, first 2 shown]
	s_add_co_i32 s28, s3, s1
	s_mov_b32 s29, s9
	s_mov_b64 s[30:31], 0xffffffff
	s_sub_co_i32 s45, 0, s7
	s_ashr_i32 s34, s17, 31
	s_mov_b32 s46, 0
	s_branch .LBB13_3
.LBB13_2:                               ;   in Loop: Header=BB13_3 Depth=1
	s_or_b32 exec_lo, exec_lo, s35
	v_add_nc_u32_e32 v16, s40, v16
	s_delay_alu instid0(VALU_DEP_1) | instskip(SKIP_1) | instid1(SALU_CYCLE_1)
	v_cmp_le_i32_e32 vcc_lo, s4, v16
	s_or_b32 s46, vcc_lo, s46
	s_and_not1_b32 exec_lo, exec_lo, s46
	s_cbranch_execz .LBB13_28
.LBB13_3:                               ; =>This Loop Header: Depth=1
                                        ;     Child Loop BB13_10 Depth 2
                                        ;       Child Loop BB13_17 Depth 3
                                        ;         Child Loop BB13_24 Depth 4
	v_add_nc_u32_e32 v1, 1, v16
                                        ; implicit-def: $vgpr4_vgpr5
	s_mov_b32 s1, exec_lo
	s_delay_alu instid0(VALU_DEP_1) | instskip(NEXT) | instid1(VALU_DEP_1)
	v_mad_nc_i64_i32 v[2:3], v1, s14, -1
	v_or_b32_e32 v1, s17, v3
	s_delay_alu instid0(VALU_DEP_1)
	v_cmpx_ne_u64_e32 0, v[0:1]
	s_xor_b32 s36, exec_lo, s1
	s_cbranch_execnz .LBB13_6
; %bb.4:                                ;   in Loop: Header=BB13_3 Depth=1
	s_and_not1_saveexec_b32 s1, s36
	s_cbranch_execnz .LBB13_7
.LBB13_5:                               ;   in Loop: Header=BB13_3 Depth=1
	s_or_b32 exec_lo, exec_lo, s1
	s_and_saveexec_b32 s35, s0
	s_cbranch_execz .LBB13_2
	s_branch .LBB13_8
.LBB13_6:                               ;   in Loop: Header=BB13_3 Depth=1
	s_mov_b32 s35, s34
	v_dual_mov_b32 v7, v0 :: v_dual_ashrrev_i32 v4, 31, v3
	s_add_nc_u64 s[2:3], s[16:17], s[34:35]
	s_delay_alu instid0(SALU_CYCLE_1) | instskip(NEXT) | instid1(VALU_DEP_1)
	s_xor_b64 s[2:3], s[2:3], s[34:35]
	v_mov_b32_e32 v5, v4
	s_cvt_f32_u32 s1, s2
	s_cvt_f32_u32 s8, s3
	s_sub_nc_u64 s[48:49], 0, s[2:3]
	s_delay_alu instid0(VALU_DEP_1) | instskip(NEXT) | instid1(SALU_CYCLE_1)
	v_add_nc_u64_e32 v[2:3], v[2:3], v[4:5]
	s_fmamk_f32 s1, s8, 0x4f800000, s1
	v_mov_b32_e32 v11, v0
	s_delay_alu instid0(SALU_CYCLE_2) | instskip(NEXT) | instid1(VALU_DEP_2)
	v_s_rcp_f32 s1, s1
	v_xor_b32_e32 v6, v2, v4
	s_delay_alu instid0(VALU_DEP_3) | instskip(NEXT) | instid1(TRANS32_DEP_1)
	v_dual_mov_b32 v15, v0 :: v_dual_bitop2_b32 v10, v3, v4 bitop3:0x14
	s_mul_f32 s1, s1, 0x5f7ffffc
	s_delay_alu instid0(SALU_CYCLE_3) | instskip(NEXT) | instid1(SALU_CYCLE_3)
	s_mul_f32 s8, s1, 0x2f800000
	s_trunc_f32 s8, s8
	s_delay_alu instid0(SALU_CYCLE_3) | instskip(SKIP_1) | instid1(SALU_CYCLE_2)
	s_fmamk_f32 s1, s8, 0xcf800000, s1
	s_cvt_u32_f32 s39, s8
	s_cvt_u32_f32 s38, s1
	s_delay_alu instid0(SALU_CYCLE_3) | instskip(NEXT) | instid1(SALU_CYCLE_1)
	s_mul_u64 s[50:51], s[48:49], s[38:39]
	s_mul_hi_u32 s53, s38, s51
	s_mul_i32 s52, s38, s51
	s_mul_hi_u32 s8, s38, s50
	s_mul_i32 s35, s39, s50
	s_add_nc_u64 s[52:53], s[8:9], s[52:53]
	s_mul_hi_u32 s1, s39, s50
	s_mul_hi_u32 s37, s39, s51
	s_add_co_u32 s8, s52, s35
	s_add_co_ci_u32 s8, s53, s1
	s_mul_i32 s50, s39, s51
	s_add_co_ci_u32 s51, s37, 0
	s_delay_alu instid0(SALU_CYCLE_1) | instskip(NEXT) | instid1(SALU_CYCLE_1)
	s_add_nc_u64 s[50:51], s[8:9], s[50:51]
	s_add_co_u32 s38, s38, s50
	s_cselect_b32 s1, -1, 0
	s_delay_alu instid0(SALU_CYCLE_1) | instskip(SKIP_1) | instid1(SALU_CYCLE_1)
	s_cmp_lg_u32 s1, 0
	s_add_co_ci_u32 s39, s39, s51
	s_mul_u64 s[48:49], s[48:49], s[38:39]
	s_delay_alu instid0(SALU_CYCLE_1)
	s_mul_hi_u32 s51, s38, s49
	s_mul_i32 s50, s38, s49
	s_mul_hi_u32 s8, s38, s48
	s_mul_i32 s35, s39, s48
	s_add_nc_u64 s[50:51], s[8:9], s[50:51]
	s_mul_hi_u32 s1, s39, s48
	s_mul_hi_u32 s37, s39, s49
	s_add_co_u32 s8, s50, s35
	s_add_co_ci_u32 s8, s51, s1
	s_mul_i32 s48, s39, s49
	s_add_co_ci_u32 s49, s37, 0
	s_delay_alu instid0(SALU_CYCLE_1) | instskip(NEXT) | instid1(SALU_CYCLE_1)
	s_add_nc_u64 s[48:49], s[8:9], s[48:49]
	s_add_co_u32 s38, s38, s48
	s_cselect_b32 s1, -1, 0
	v_mul_hi_u32 v14, v6, s38
	s_cmp_lg_u32 s1, 0
	s_add_co_ci_u32 s8, s39, s49
	s_and_b64 s[48:49], s[38:39], s[30:31]
	v_mul_u64_e32 v[8:9], s[8:9], v[6:7]
	v_mul_u64_e32 v[2:3], s[48:49], v[10:11]
	;; [unrolled: 1-line block ×3, first 2 shown]
	s_delay_alu instid0(VALU_DEP_3) | instskip(NEXT) | instid1(VALU_DEP_1)
	v_add_nc_u64_e32 v[8:9], v[14:15], v[8:9]
	v_add_co_u32 v1, vcc_lo, v8, v2
	s_delay_alu instid0(VALU_DEP_2) | instskip(NEXT) | instid1(VALU_DEP_4)
	v_add_co_ci_u32_e32 v14, vcc_lo, v9, v3, vcc_lo
	v_add_co_ci_u32_e32 v13, vcc_lo, 0, v13, vcc_lo
	s_delay_alu instid0(VALU_DEP_1) | instskip(NEXT) | instid1(VALU_DEP_1)
	v_add_nc_u64_e32 v[2:3], v[14:15], v[12:13]
	v_mul_u64_e32 v[8:9], s[2:3], v[2:3]
	s_delay_alu instid0(VALU_DEP_1) | instskip(NEXT) | instid1(VALU_DEP_2)
	v_sub_nc_u32_e32 v1, v10, v9
	v_sub_co_u32 v5, vcc_lo, v6, v8
	s_delay_alu instid0(VALU_DEP_1) | instskip(NEXT) | instid1(VALU_DEP_3)
	v_sub_co_ci_u32_e64 v10, null, v10, v9, vcc_lo
	v_subrev_co_ci_u32_e64 v1, null, s3, v1, vcc_lo
	s_delay_alu instid0(VALU_DEP_3) | instskip(SKIP_1) | instid1(VALU_DEP_3)
	v_sub_co_u32 v6, s1, v5, s2
	v_add_nc_u64_e32 v[8:9], 1, v[2:3]
	v_subrev_co_ci_u32_e64 v1, null, 0, v1, s1
	s_delay_alu instid0(VALU_DEP_3) | instskip(SKIP_1) | instid1(VALU_DEP_3)
	v_cmp_le_u32_e32 vcc_lo, s2, v6
	v_cndmask_b32_e64 v6, 0, -1, vcc_lo
	v_cmp_le_u32_e32 vcc_lo, s3, v1
	v_cndmask_b32_e64 v7, 0, -1, vcc_lo
	;; [unrolled: 2-line block ×4, first 2 shown]
	v_cmp_eq_u32_e32 vcc_lo, s3, v1
	v_cndmask_b32_e32 v1, v7, v6, vcc_lo
	v_cmp_eq_u32_e32 vcc_lo, s3, v10
	v_add_nc_u64_e32 v[6:7], 2, v[2:3]
	v_cndmask_b32_e32 v5, v11, v5, vcc_lo
	s_delay_alu instid0(VALU_DEP_4) | instskip(NEXT) | instid1(VALU_DEP_3)
	v_cmp_ne_u32_e32 vcc_lo, 0, v1
	v_cndmask_b32_e32 v1, v9, v7, vcc_lo
	s_delay_alu instid0(VALU_DEP_3) | instskip(SKIP_1) | instid1(VALU_DEP_2)
	v_cmp_ne_u32_e64 s1, 0, v5
	v_dual_cndmask_b32 v5, v8, v6, vcc_lo :: v_dual_bitop2_b32 v4, s34, v4 bitop3:0x14
	v_cndmask_b32_e64 v1, v3, v1, s1
	s_delay_alu instid0(VALU_DEP_2) | instskip(NEXT) | instid1(VALU_DEP_2)
	v_dual_cndmask_b32 v2, v2, v5, s1 :: v_dual_mov_b32 v5, v4
	v_xor_b32_e32 v3, v1, v4
	s_delay_alu instid0(VALU_DEP_2) | instskip(NEXT) | instid1(VALU_DEP_1)
	v_xor_b32_e32 v2, v2, v4
	v_sub_nc_u64_e32 v[4:5], v[2:3], v[4:5]
                                        ; implicit-def: $vgpr2_vgpr3
	s_and_not1_saveexec_b32 s1, s36
	s_cbranch_execz .LBB13_5
.LBB13_7:                               ;   in Loop: Header=BB13_3 Depth=1
	s_sub_co_i32 s2, 0, s16
	s_delay_alu instid0(SALU_CYCLE_1) | instskip(NEXT) | instid1(VALU_DEP_1)
	v_mul_lo_u32 v1, s2, v18
	v_mul_hi_u32 v1, v18, v1
	s_delay_alu instid0(VALU_DEP_1) | instskip(NEXT) | instid1(VALU_DEP_1)
	v_add_nc_u32_e32 v1, v18, v1
	v_mul_hi_u32 v1, v2, v1
	s_delay_alu instid0(VALU_DEP_1) | instskip(NEXT) | instid1(VALU_DEP_1)
	v_mul_lo_u32 v3, v1, s16
	v_dual_sub_nc_u32 v2, v2, v3 :: v_dual_add_nc_u32 v3, 1, v1
	s_delay_alu instid0(VALU_DEP_1) | instskip(SKIP_1) | instid1(VALU_DEP_2)
	v_subrev_nc_u32_e32 v4, s16, v2
	v_cmp_le_u32_e32 vcc_lo, s16, v2
	v_dual_cndmask_b32 v2, v2, v4 :: v_dual_cndmask_b32 v1, v1, v3
	s_delay_alu instid0(VALU_DEP_1) | instskip(NEXT) | instid1(VALU_DEP_2)
	v_cmp_le_u32_e32 vcc_lo, s16, v2
	v_add_nc_u32_e32 v3, 1, v1
	s_delay_alu instid0(VALU_DEP_1)
	v_cndmask_b32_e32 v4, v1, v3, vcc_lo
	s_or_b32 exec_lo, exec_lo, s1
	s_and_saveexec_b32 s35, s0
	s_cbranch_execz .LBB13_2
.LBB13_8:                               ;   in Loop: Header=BB13_3 Depth=1
	v_dual_sub_nc_u32 v1, 0, v16 :: v_dual_mov_b32 v3, v0
	s_mov_b32 s47, 0
	v_ashrrev_i32_e32 v5, 31, v16
	s_delay_alu instid0(VALU_DEP_2) | instskip(NEXT) | instid1(VALU_DEP_2)
	v_dual_add_nc_u32 v20, 1, v4 :: v_dual_max_i32 v2, v16, v1
	v_dual_mov_b32 v4, v17 :: v_dual_bitop2_b32 v5, s17, v5 bitop3:0x14
	s_delay_alu instid0(VALU_DEP_2) | instskip(NEXT) | instid1(VALU_DEP_1)
	v_mul_u64_e32 v[6:7], s[22:23], v[2:3]
	v_mul_lo_u32 v1, v7, s33
	s_delay_alu instid0(VALU_DEP_1) | instskip(NEXT) | instid1(VALU_DEP_1)
	v_dual_sub_nc_u32 v1, v2, v1 :: v_dual_add_nc_u32 v2, 1, v7
	v_subrev_nc_u32_e32 v3, s33, v1
	v_cmp_le_u32_e32 vcc_lo, s33, v1
	s_delay_alu instid0(VALU_DEP_2) | instskip(NEXT) | instid1(VALU_DEP_1)
	v_dual_cndmask_b32 v2, v7, v2 :: v_dual_cndmask_b32 v1, v1, v3
	v_add_nc_u32_e32 v3, 1, v2
	s_delay_alu instid0(VALU_DEP_2) | instskip(NEXT) | instid1(VALU_DEP_2)
	v_cmp_le_u32_e32 vcc_lo, s33, v1
	v_dual_cndmask_b32 v1, v2, v3, vcc_lo :: v_dual_mov_b32 v3, v0
	s_delay_alu instid0(VALU_DEP_1) | instskip(NEXT) | instid1(VALU_DEP_1)
	v_xor_b32_e32 v1, v1, v5
	v_sub_nc_u32_e32 v1, v1, v5
	s_delay_alu instid0(VALU_DEP_1) | instskip(NEXT) | instid1(VALU_DEP_1)
	v_mul_lo_u32 v2, v1, s4
	v_sub_nc_u32_e32 v2, v16, v2
	s_delay_alu instid0(VALU_DEP_1) | instskip(NEXT) | instid1(VALU_DEP_1)
	v_mul_lo_u32 v5, v2, s6
	v_sub_nc_u32_e32 v2, 0, v5
	s_delay_alu instid0(VALU_DEP_1) | instskip(NEXT) | instid1(VALU_DEP_1)
	v_max_i32_e32 v2, v5, v2
	v_mul_u64_e32 v[6:7], s[22:23], v[2:3]
	s_delay_alu instid0(VALU_DEP_1) | instskip(NEXT) | instid1(VALU_DEP_1)
	v_mul_lo_u32 v3, v7, s33
	v_sub_nc_u32_e32 v2, v2, v3
	v_add_nc_u32_e32 v3, 1, v7
	s_delay_alu instid0(VALU_DEP_2) | instskip(NEXT) | instid1(VALU_DEP_2)
	v_cmp_le_u32_e32 vcc_lo, s33, v2
	v_cndmask_b32_e32 v3, v7, v3, vcc_lo
	v_subrev_nc_u32_e32 v6, s33, v2
	s_delay_alu instid0(VALU_DEP_1) | instskip(NEXT) | instid1(VALU_DEP_1)
	v_dual_cndmask_b32 v2, v2, v6 :: v_dual_ashrrev_i32 v5, 31, v5
	v_dual_add_nc_u32 v6, 1, v3 :: v_dual_bitop2_b32 v5, s17, v5 bitop3:0x14
	s_delay_alu instid0(VALU_DEP_2) | instskip(NEXT) | instid1(VALU_DEP_2)
	v_cmp_le_u32_e32 vcc_lo, s33, v2
	v_cndmask_b32_e32 v2, v3, v6, vcc_lo
	s_delay_alu instid0(VALU_DEP_1) | instskip(NEXT) | instid1(VALU_DEP_1)
	v_xor_b32_e32 v2, v2, v5
	v_sub_nc_u32_e32 v3, v2, v5
	v_mul_lo_u32 v2, v16, s5
	s_delay_alu instid0(VALU_DEP_2) | instskip(NEXT) | instid1(VALU_DEP_2)
	v_mad_u32 v19, v1, s6, v3
	v_ashrrev_i32_e32 v3, 31, v2
	s_delay_alu instid0(VALU_DEP_2) | instskip(NEXT) | instid1(VALU_DEP_2)
	v_mul_lo_u32 v21, s7, v19
	v_lshl_add_u64 v[2:3], v[2:3], 3, s[12:13]
	v_cmp_lt_i32_e64 s1, v19, v20
	s_branch .LBB13_10
.LBB13_9:                               ;   in Loop: Header=BB13_10 Depth=2
	s_or_b32 exec_lo, exec_lo, s48
	v_add_nc_u32_e32 v4, s42, v4
	s_delay_alu instid0(VALU_DEP_1) | instskip(SKIP_1) | instid1(SALU_CYCLE_1)
	v_cmp_le_i32_e32 vcc_lo, s5, v4
	s_or_b32 s47, vcc_lo, s47
	s_and_not1_b32 exec_lo, exec_lo, s47
	s_cbranch_execz .LBB13_2
.LBB13_10:                              ;   Parent Loop BB13_3 Depth=1
                                        ; =>  This Loop Header: Depth=2
                                        ;       Child Loop BB13_17 Depth 3
                                        ;         Child Loop BB13_24 Depth 4
	v_add_nc_u32_e32 v1, 1, v4
                                        ; implicit-def: $vgpr8_vgpr9
	s_mov_b32 s2, exec_lo
	s_delay_alu instid0(VALU_DEP_1) | instskip(NEXT) | instid1(VALU_DEP_1)
	v_mad_nc_u64_u32 v[6:7], v1, s18, -1
	v_mad_u32 v7, v1, s19, v7
	s_delay_alu instid0(VALU_DEP_1) | instskip(NEXT) | instid1(VALU_DEP_1)
	v_or_b32_e32 v1, s21, v7
	v_cmpx_ne_u64_e32 0, v[0:1]
	s_xor_b32 s3, exec_lo, s2
	s_cbranch_execnz .LBB13_13
; %bb.11:                               ;   in Loop: Header=BB13_10 Depth=2
	s_and_not1_saveexec_b32 s2, s3
	s_cbranch_execnz .LBB13_14
.LBB13_12:                              ;   in Loop: Header=BB13_10 Depth=2
	s_or_b32 exec_lo, exec_lo, s2
	v_mov_b32_e32 v5, v0
	s_and_saveexec_b32 s48, s1
	s_cbranch_execz .LBB13_9
	s_branch .LBB13_15
.LBB13_13:                              ;   in Loop: Header=BB13_10 Depth=2
	s_ashr_i32 s36, s21, 31
	v_dual_mov_b32 v11, v0 :: v_dual_ashrrev_i32 v8, 31, v7
	s_mov_b32 s37, s36
	s_delay_alu instid0(SALU_CYCLE_1) | instskip(NEXT) | instid1(VALU_DEP_1)
	s_add_nc_u64 s[38:39], s[20:21], s[36:37]
	v_mov_b32_e32 v9, v8
	s_xor_b64 s[38:39], s[38:39], s[36:37]
	s_delay_alu instid0(SALU_CYCLE_1)
	s_cvt_f32_u32 s2, s38
	s_cvt_f32_u32 s8, s39
	s_sub_nc_u64 s[50:51], 0, s[38:39]
	v_add_nc_u64_e32 v[6:7], v[6:7], v[8:9]
	v_mov_b32_e32 v15, v0
	s_fmamk_f32 s2, s8, 0x4f800000, s2
	s_delay_alu instid0(SALU_CYCLE_3) | instskip(NEXT) | instid1(VALU_DEP_2)
	v_s_rcp_f32 s2, s2
	v_xor_b32_e32 v10, v6, v8
	s_delay_alu instid0(VALU_DEP_3) | instskip(NEXT) | instid1(TRANS32_DEP_1)
	v_dual_mov_b32 v25, v0 :: v_dual_bitop2_b32 v14, v7, v8 bitop3:0x14
	s_mul_f32 s2, s2, 0x5f7ffffc
	s_delay_alu instid0(SALU_CYCLE_3) | instskip(NEXT) | instid1(SALU_CYCLE_3)
	s_mul_f32 s8, s2, 0x2f800000
	s_trunc_f32 s8, s8
	s_delay_alu instid0(SALU_CYCLE_3) | instskip(SKIP_1) | instid1(SALU_CYCLE_2)
	s_fmamk_f32 s2, s8, 0xcf800000, s2
	s_cvt_u32_f32 s49, s8
	s_cvt_u32_f32 s48, s2
	s_delay_alu instid0(SALU_CYCLE_3) | instskip(NEXT) | instid1(SALU_CYCLE_1)
	s_mul_u64 s[52:53], s[50:51], s[48:49]
	s_mul_hi_u32 s55, s48, s53
	s_mul_i32 s54, s48, s53
	s_mul_hi_u32 s8, s48, s52
	s_mul_i32 s37, s49, s52
	s_add_nc_u64 s[54:55], s[8:9], s[54:55]
	s_mul_hi_u32 s2, s49, s52
	s_mul_hi_u32 s56, s49, s53
	s_add_co_u32 s8, s54, s37
	s_add_co_ci_u32 s8, s55, s2
	s_mul_i32 s52, s49, s53
	s_add_co_ci_u32 s53, s56, 0
	s_delay_alu instid0(SALU_CYCLE_1) | instskip(NEXT) | instid1(SALU_CYCLE_1)
	s_add_nc_u64 s[52:53], s[8:9], s[52:53]
	s_add_co_u32 s48, s48, s52
	s_cselect_b32 s2, -1, 0
	s_delay_alu instid0(SALU_CYCLE_1) | instskip(SKIP_1) | instid1(SALU_CYCLE_1)
	s_cmp_lg_u32 s2, 0
	s_add_co_ci_u32 s49, s49, s53
	s_mul_u64 s[50:51], s[50:51], s[48:49]
	s_delay_alu instid0(SALU_CYCLE_1)
	s_mul_hi_u32 s53, s48, s51
	s_mul_i32 s52, s48, s51
	s_mul_hi_u32 s8, s48, s50
	s_mul_i32 s37, s49, s50
	s_add_nc_u64 s[52:53], s[8:9], s[52:53]
	s_mul_hi_u32 s2, s49, s50
	s_mul_hi_u32 s54, s49, s51
	s_add_co_u32 s8, s52, s37
	s_add_co_ci_u32 s8, s53, s2
	s_mul_i32 s50, s49, s51
	s_add_co_ci_u32 s51, s54, 0
	s_delay_alu instid0(SALU_CYCLE_1) | instskip(NEXT) | instid1(SALU_CYCLE_1)
	s_add_nc_u64 s[50:51], s[8:9], s[50:51]
	s_add_co_u32 s2, s48, s50
	s_cselect_b32 s8, -1, 0
	v_mul_hi_u32 v24, v10, s2
	s_cmp_lg_u32 s8, 0
	s_add_co_ci_u32 s8, s49, s51
	s_and_b64 s[48:49], s[2:3], s[30:31]
	v_mul_u64_e32 v[12:13], s[8:9], v[10:11]
	v_mul_u64_e32 v[6:7], s[48:49], v[14:15]
	;; [unrolled: 1-line block ×3, first 2 shown]
	s_delay_alu instid0(VALU_DEP_3) | instskip(NEXT) | instid1(VALU_DEP_1)
	v_add_nc_u64_e32 v[12:13], v[24:25], v[12:13]
	v_add_co_u32 v1, vcc_lo, v12, v6
	s_delay_alu instid0(VALU_DEP_2) | instskip(NEXT) | instid1(VALU_DEP_4)
	v_add_co_ci_u32_e32 v24, vcc_lo, v13, v7, vcc_lo
	v_add_co_ci_u32_e32 v23, vcc_lo, 0, v23, vcc_lo
	s_delay_alu instid0(VALU_DEP_1) | instskip(NEXT) | instid1(VALU_DEP_1)
	v_add_nc_u64_e32 v[6:7], v[24:25], v[22:23]
	v_mul_u64_e32 v[12:13], s[38:39], v[6:7]
	s_delay_alu instid0(VALU_DEP_1) | instskip(NEXT) | instid1(VALU_DEP_2)
	v_sub_nc_u32_e32 v1, v14, v13
	v_sub_co_u32 v5, vcc_lo, v10, v12
	s_delay_alu instid0(VALU_DEP_1) | instskip(NEXT) | instid1(VALU_DEP_3)
	v_sub_co_ci_u32_e64 v14, null, v14, v13, vcc_lo
	v_subrev_co_ci_u32_e64 v1, null, s39, v1, vcc_lo
	s_delay_alu instid0(VALU_DEP_3) | instskip(SKIP_1) | instid1(VALU_DEP_3)
	v_sub_co_u32 v9, s2, v5, s38
	v_add_nc_u64_e32 v[12:13], 1, v[6:7]
	v_subrev_co_ci_u32_e64 v1, null, 0, v1, s2
	s_delay_alu instid0(VALU_DEP_3) | instskip(SKIP_1) | instid1(VALU_DEP_3)
	v_cmp_le_u32_e32 vcc_lo, s38, v9
	v_cndmask_b32_e64 v9, 0, -1, vcc_lo
	v_cmp_le_u32_e32 vcc_lo, s39, v1
	v_cndmask_b32_e64 v10, 0, -1, vcc_lo
	;; [unrolled: 2-line block ×4, first 2 shown]
	v_cmp_eq_u32_e32 vcc_lo, s39, v1
	v_cndmask_b32_e32 v1, v10, v9, vcc_lo
	v_cmp_eq_u32_e32 vcc_lo, s39, v14
	v_add_nc_u64_e32 v[10:11], 2, v[6:7]
	v_cndmask_b32_e32 v5, v15, v5, vcc_lo
	s_delay_alu instid0(VALU_DEP_4) | instskip(NEXT) | instid1(VALU_DEP_3)
	v_cmp_ne_u32_e32 vcc_lo, 0, v1
	v_cndmask_b32_e32 v1, v13, v11, vcc_lo
	s_delay_alu instid0(VALU_DEP_3) | instskip(SKIP_1) | instid1(VALU_DEP_2)
	v_cmp_ne_u32_e64 s2, 0, v5
	v_dual_cndmask_b32 v5, v12, v10, vcc_lo :: v_dual_bitop2_b32 v8, s36, v8 bitop3:0x14
	v_cndmask_b32_e64 v1, v7, v1, s2
	s_delay_alu instid0(VALU_DEP_2) | instskip(NEXT) | instid1(VALU_DEP_2)
	v_dual_cndmask_b32 v5, v6, v5, s2 :: v_dual_mov_b32 v9, v8
	v_xor_b32_e32 v7, v1, v8
	s_delay_alu instid0(VALU_DEP_2) | instskip(NEXT) | instid1(VALU_DEP_1)
	v_xor_b32_e32 v6, v5, v8
	v_sub_nc_u64_e32 v[8:9], v[6:7], v[8:9]
                                        ; implicit-def: $vgpr6_vgpr7
	s_and_not1_saveexec_b32 s2, s3
	s_cbranch_execz .LBB13_12
.LBB13_14:                              ;   in Loop: Header=BB13_10 Depth=2
	v_cvt_f32_u32_e32 v1, s20
	s_sub_co_i32 s3, 0, s20
	s_delay_alu instid0(VALU_DEP_1) | instskip(SKIP_1) | instid1(TRANS32_DEP_1)
	v_rcp_iflag_f32_e32 v1, v1
	v_nop
	v_mul_f32_e32 v1, 0x4f7ffffe, v1
	s_delay_alu instid0(VALU_DEP_1) | instskip(NEXT) | instid1(VALU_DEP_1)
	v_cvt_u32_f32_e32 v1, v1
	v_mul_lo_u32 v5, s3, v1
	s_delay_alu instid0(VALU_DEP_1) | instskip(NEXT) | instid1(VALU_DEP_1)
	v_mul_hi_u32 v5, v1, v5
	v_add_nc_u32_e32 v1, v1, v5
	s_delay_alu instid0(VALU_DEP_1) | instskip(NEXT) | instid1(VALU_DEP_1)
	v_mul_hi_u32 v1, v6, v1
	v_mul_lo_u32 v5, v1, s20
	s_delay_alu instid0(VALU_DEP_1) | instskip(NEXT) | instid1(VALU_DEP_1)
	v_sub_nc_u32_e32 v5, v6, v5
	v_subrev_nc_u32_e32 v7, s20, v5
	v_cmp_le_u32_e32 vcc_lo, s20, v5
	s_delay_alu instid0(VALU_DEP_2) | instskip(NEXT) | instid1(VALU_DEP_1)
	v_dual_cndmask_b32 v5, v5, v7 :: v_dual_add_nc_u32 v6, 1, v1
	v_cndmask_b32_e32 v1, v1, v6, vcc_lo
	s_delay_alu instid0(VALU_DEP_2) | instskip(NEXT) | instid1(VALU_DEP_2)
	v_cmp_le_u32_e32 vcc_lo, s20, v5
	v_add_nc_u32_e32 v6, 1, v1
	s_delay_alu instid0(VALU_DEP_1)
	v_cndmask_b32_e32 v8, v1, v6, vcc_lo
	s_or_b32 exec_lo, exec_lo, s2
	v_mov_b32_e32 v5, v0
	s_and_saveexec_b32 s48, s1
	s_cbranch_execz .LBB13_9
.LBB13_15:                              ;   in Loop: Header=BB13_10 Depth=2
	v_mul_lo_u32 v1, v4, s7
	s_delay_alu instid0(VALU_DEP_2) | instskip(SKIP_2) | instid1(VALU_DEP_3)
	v_mul_u64_e32 v[10:11], s[24:25], v[4:5]
	s_mov_b32 s49, 0
	v_dual_mov_b32 v7, v0 :: v_dual_add_nc_u32 v23, 1, v8
	v_sub_nc_u32_e32 v6, 0, v1
	s_delay_alu instid0(VALU_DEP_1) | instskip(NEXT) | instid1(VALU_DEP_1)
	v_max_i32_e32 v6, v1, v6
	v_mul_u64_e32 v[12:13], s[24:25], v[6:7]
	v_mul_lo_u32 v7, v11, s41
	s_delay_alu instid0(VALU_DEP_1) | instskip(NEXT) | instid1(VALU_DEP_1)
	v_sub_nc_u32_e32 v7, v4, v7
	v_cmp_le_u32_e32 vcc_lo, s41, v7
	s_delay_alu instid0(VALU_DEP_4) | instskip(NEXT) | instid1(VALU_DEP_1)
	v_mul_lo_u32 v9, v13, s41
	v_dual_add_nc_u32 v10, 1, v11 :: v_dual_sub_nc_u32 v6, v6, v9
	s_delay_alu instid0(VALU_DEP_1) | instskip(SKIP_2) | instid1(VALU_DEP_4)
	v_dual_cndmask_b32 v10, v11, v10 :: v_dual_add_nc_u32 v9, 1, v13
	v_subrev_nc_u32_e32 v11, s41, v7
	v_ashrrev_i32_e32 v1, 31, v1
	v_cmp_le_u32_e64 s2, s41, v6
	v_subrev_nc_u32_e32 v12, s41, v6
	s_delay_alu instid0(VALU_DEP_4) | instskip(NEXT) | instid1(VALU_DEP_2)
	v_dual_cndmask_b32 v7, v7, v11, vcc_lo :: v_dual_add_nc_u32 v11, 1, v10
	v_dual_cndmask_b32 v9, v13, v9, s2 :: v_dual_cndmask_b32 v6, v6, v12, s2
	s_delay_alu instid0(VALU_DEP_2) | instskip(SKIP_1) | instid1(VALU_DEP_3)
	v_cmp_le_u32_e32 vcc_lo, s41, v7
	v_xor_b32_e32 v1, s21, v1
	v_dual_cndmask_b32 v7, v10, v11 :: v_dual_add_nc_u32 v12, 1, v9
	s_delay_alu instid0(VALU_DEP_4) | instskip(NEXT) | instid1(VALU_DEP_2)
	v_cmp_le_u32_e32 vcc_lo, s41, v6
	v_dual_cndmask_b32 v6, v9, v12, vcc_lo :: v_dual_bitop2_b32 v7, s21, v7 bitop3:0x14
	v_mov_b32_e32 v12, v19
	s_delay_alu instid0(VALU_DEP_2) | instskip(NEXT) | instid1(VALU_DEP_3)
	v_subrev_nc_u32_e32 v7, s21, v7
	v_xor_b32_e32 v6, v6, v1
	s_delay_alu instid0(VALU_DEP_1) | instskip(NEXT) | instid1(VALU_DEP_1)
	v_sub_nc_u32_e32 v1, v6, v1
	v_mad_u32 v22, v7, s7, v1
	v_lshl_add_u64 v[6:7], v[4:5], 3, v[2:3]
	v_mov_b32_e32 v5, v21
	s_delay_alu instid0(VALU_DEP_3)
	v_cmp_lt_i32_e64 s2, v22, v23
	s_branch .LBB13_17
.LBB13_16:                              ;   in Loop: Header=BB13_17 Depth=3
	s_or_b32 exec_lo, exec_lo, s50
	s_delay_alu instid0(VALU_DEP_1) | instskip(SKIP_2) | instid1(SALU_CYCLE_1)
	v_cmp_ge_i32_e32 vcc_lo, v24, v20
	v_dual_mov_b32 v12, v24 :: v_dual_add_nc_u32 v5, s7, v5
	s_or_b32 s49, vcc_lo, s49
	s_and_not1_b32 exec_lo, exec_lo, s49
	s_cbranch_execz .LBB13_9
.LBB13_17:                              ;   Parent Loop BB13_3 Depth=1
                                        ;     Parent Loop BB13_10 Depth=2
                                        ; =>    This Loop Header: Depth=3
                                        ;         Child Loop BB13_24 Depth 4
	s_delay_alu instid0(VALU_DEP_1) | instskip(NEXT) | instid1(VALU_DEP_2)
	v_add_nc_u32_e32 v24, 1, v12
	s_and_saveexec_b32 s50, s2
	s_cbranch_execz .LBB13_16
; %bb.18:                               ;   in Loop: Header=BB13_17 Depth=3
	s_delay_alu instid0(VALU_DEP_1) | instskip(SKIP_1) | instid1(VALU_DEP_1)
	v_mad_nc_i64_i32 v[8:9], v24, s16, -1
                                        ; implicit-def: $vgpr10_vgpr11
	s_mov_b32 s3, exec_lo
	v_or_b32_e32 v1, s15, v9
	s_delay_alu instid0(VALU_DEP_1)
	v_cmpx_ne_u64_e32 0, v[0:1]
	s_xor_b32 s51, exec_lo, s3
	s_cbranch_execz .LBB13_20
; %bb.19:                               ;   in Loop: Header=BB13_17 Depth=3
	s_ashr_i32 s36, s15, 31
	v_dual_mov_b32 v15, v0 :: v_dual_ashrrev_i32 v10, 31, v9
	s_mov_b32 s37, s36
	v_mov_b32_e32 v33, v0
	s_add_nc_u64 s[38:39], s[14:15], s[36:37]
	s_delay_alu instid0(VALU_DEP_2) | instskip(SKIP_1) | instid1(SALU_CYCLE_1)
	v_mov_b32_e32 v11, v10
	s_xor_b64 s[38:39], s[38:39], s[36:37]
	s_cvt_f32_u32 s3, s38
	s_cvt_f32_u32 s8, s39
	s_sub_nc_u64 s[54:55], 0, s[38:39]
	v_add_nc_u64_e32 v[8:9], v[8:9], v[10:11]
	v_mov_b32_e32 v29, v0
	s_fmamk_f32 s3, s8, 0x4f800000, s3
	s_delay_alu instid0(SALU_CYCLE_3) | instskip(NEXT) | instid1(VALU_DEP_2)
	v_s_rcp_f32 s3, s3
	v_xor_b32_e32 v14, v8, v10
	s_delay_alu instid0(VALU_DEP_3) | instskip(SKIP_1) | instid1(TRANS32_DEP_1)
	v_xor_b32_e32 v28, v9, v10
	v_xor_b32_e32 v10, s36, v10
	s_mul_f32 s3, s3, 0x5f7ffffc
	s_delay_alu instid0(SALU_CYCLE_3) | instskip(NEXT) | instid1(SALU_CYCLE_3)
	s_mul_f32 s8, s3, 0x2f800000
	s_trunc_f32 s8, s8
	s_delay_alu instid0(SALU_CYCLE_3) | instskip(SKIP_1) | instid1(SALU_CYCLE_2)
	s_fmamk_f32 s3, s8, 0xcf800000, s3
	s_cvt_u32_f32 s53, s8
	s_cvt_u32_f32 s52, s3
	s_delay_alu instid0(SALU_CYCLE_3) | instskip(NEXT) | instid1(SALU_CYCLE_1)
	s_mul_u64 s[56:57], s[54:55], s[52:53]
	s_mul_hi_u32 s59, s52, s57
	s_mul_i32 s58, s52, s57
	s_mul_hi_u32 s8, s52, s56
	s_mul_i32 s37, s53, s56
	s_add_nc_u64 s[58:59], s[8:9], s[58:59]
	s_mul_hi_u32 s3, s53, s56
	s_mul_hi_u32 s60, s53, s57
	s_add_co_u32 s8, s58, s37
	s_add_co_ci_u32 s8, s59, s3
	s_mul_i32 s56, s53, s57
	s_add_co_ci_u32 s57, s60, 0
	s_delay_alu instid0(SALU_CYCLE_1) | instskip(NEXT) | instid1(SALU_CYCLE_1)
	s_add_nc_u64 s[56:57], s[8:9], s[56:57]
	s_add_co_u32 s52, s52, s56
	s_cselect_b32 s3, -1, 0
	s_delay_alu instid0(SALU_CYCLE_1) | instskip(SKIP_1) | instid1(SALU_CYCLE_1)
	s_cmp_lg_u32 s3, 0
	s_add_co_ci_u32 s53, s53, s57
	s_mul_u64 s[54:55], s[54:55], s[52:53]
	s_delay_alu instid0(SALU_CYCLE_1)
	s_mul_hi_u32 s57, s52, s55
	s_mul_i32 s56, s52, s55
	s_mul_hi_u32 s8, s52, s54
	s_mul_i32 s37, s53, s54
	s_add_nc_u64 s[56:57], s[8:9], s[56:57]
	s_mul_hi_u32 s3, s53, s54
	s_mul_hi_u32 s58, s53, s55
	s_add_co_u32 s8, s56, s37
	s_add_co_ci_u32 s8, s57, s3
	s_mul_i32 s54, s53, s55
	s_add_co_ci_u32 s55, s58, 0
	s_delay_alu instid0(SALU_CYCLE_1) | instskip(NEXT) | instid1(SALU_CYCLE_1)
	s_add_nc_u64 s[54:55], s[8:9], s[54:55]
	s_add_co_u32 s52, s52, s54
	s_cselect_b32 s3, -1, 0
	v_mul_hi_u32 v32, v14, s52
	s_cmp_lg_u32 s3, 0
	s_add_co_ci_u32 s8, s53, s55
	s_and_b64 s[54:55], s[52:53], s[30:31]
	v_mul_u64_e32 v[26:27], s[8:9], v[14:15]
	v_mul_u64_e32 v[8:9], s[54:55], v[28:29]
	;; [unrolled: 1-line block ×3, first 2 shown]
	s_delay_alu instid0(VALU_DEP_3) | instskip(NEXT) | instid1(VALU_DEP_1)
	v_add_nc_u64_e32 v[26:27], v[32:33], v[26:27]
	v_add_co_u32 v1, vcc_lo, v26, v8
	s_delay_alu instid0(VALU_DEP_2) | instskip(NEXT) | instid1(VALU_DEP_4)
	v_add_co_ci_u32_e32 v32, vcc_lo, v27, v9, vcc_lo
	v_add_co_ci_u32_e32 v31, vcc_lo, 0, v31, vcc_lo
	s_delay_alu instid0(VALU_DEP_1) | instskip(NEXT) | instid1(VALU_DEP_1)
	v_add_nc_u64_e32 v[8:9], v[32:33], v[30:31]
	v_mul_u64_e32 v[26:27], s[38:39], v[8:9]
	s_delay_alu instid0(VALU_DEP_1) | instskip(NEXT) | instid1(VALU_DEP_2)
	v_sub_nc_u32_e32 v1, v28, v27
	v_sub_co_u32 v11, vcc_lo, v14, v26
	s_delay_alu instid0(VALU_DEP_1) | instskip(NEXT) | instid1(VALU_DEP_3)
	v_sub_co_ci_u32_e64 v25, null, v28, v27, vcc_lo
	v_subrev_co_ci_u32_e64 v1, null, s39, v1, vcc_lo
	s_delay_alu instid0(VALU_DEP_3) | instskip(SKIP_1) | instid1(VALU_DEP_3)
	v_sub_co_u32 v13, s3, v11, s38
	v_add_nc_u64_e32 v[26:27], 1, v[8:9]
	v_subrev_co_ci_u32_e64 v1, null, 0, v1, s3
	s_delay_alu instid0(VALU_DEP_3) | instskip(SKIP_1) | instid1(VALU_DEP_3)
	v_cmp_le_u32_e32 vcc_lo, s38, v13
	v_cndmask_b32_e64 v13, 0, -1, vcc_lo
	v_cmp_le_u32_e32 vcc_lo, s39, v1
	v_cndmask_b32_e64 v14, 0, -1, vcc_lo
	;; [unrolled: 2-line block ×4, first 2 shown]
	v_cmp_eq_u32_e32 vcc_lo, s39, v1
	v_cndmask_b32_e32 v1, v14, v13, vcc_lo
	v_cmp_eq_u32_e32 vcc_lo, s39, v25
	v_add_nc_u64_e32 v[14:15], 2, v[8:9]
	v_cndmask_b32_e32 v11, v28, v11, vcc_lo
	s_delay_alu instid0(VALU_DEP_4) | instskip(NEXT) | instid1(VALU_DEP_2)
	v_cmp_ne_u32_e32 vcc_lo, 0, v1
	v_cmp_ne_u32_e64 s3, 0, v11
	s_delay_alu instid0(VALU_DEP_4) | instskip(NEXT) | instid1(VALU_DEP_1)
	v_dual_cndmask_b32 v1, v27, v15, vcc_lo :: v_dual_cndmask_b32 v11, v26, v14, vcc_lo
	v_dual_cndmask_b32 v8, v8, v11, s3 :: v_dual_mov_b32 v11, v10
	s_delay_alu instid0(VALU_DEP_1) | instskip(NEXT) | instid1(VALU_DEP_1)
	v_dual_cndmask_b32 v1, v9, v1, s3 :: v_dual_bitop2_b32 v8, v8, v10 bitop3:0x14
	v_xor_b32_e32 v9, v1, v10
	s_delay_alu instid0(VALU_DEP_1)
	v_sub_nc_u64_e32 v[10:11], v[8:9], v[10:11]
                                        ; implicit-def: $vgpr8_vgpr9
.LBB13_20:                              ;   in Loop: Header=BB13_17 Depth=3
	s_and_not1_saveexec_b32 s3, s51
	s_cbranch_execz .LBB13_22
; %bb.21:                               ;   in Loop: Header=BB13_17 Depth=3
	v_cvt_f32_u32_e32 v1, s14
	s_sub_co_i32 s8, 0, s14
	s_delay_alu instid0(VALU_DEP_1) | instskip(SKIP_1) | instid1(TRANS32_DEP_1)
	v_rcp_iflag_f32_e32 v1, v1
	v_nop
	v_mul_f32_e32 v1, 0x4f7ffffe, v1
	s_delay_alu instid0(VALU_DEP_1) | instskip(NEXT) | instid1(VALU_DEP_1)
	v_cvt_u32_f32_e32 v1, v1
	v_mul_lo_u32 v9, s8, v1
	s_delay_alu instid0(VALU_DEP_1) | instskip(NEXT) | instid1(VALU_DEP_1)
	v_mul_hi_u32 v9, v1, v9
	v_add_nc_u32_e32 v1, v1, v9
	s_delay_alu instid0(VALU_DEP_1) | instskip(NEXT) | instid1(VALU_DEP_1)
	v_mul_hi_u32 v1, v8, v1
	v_mul_lo_u32 v9, v1, s14
	s_delay_alu instid0(VALU_DEP_1) | instskip(SKIP_1) | instid1(VALU_DEP_2)
	v_sub_nc_u32_e32 v8, v8, v9
	v_add_nc_u32_e32 v9, 1, v1
	v_subrev_nc_u32_e32 v10, s14, v8
	v_cmp_le_u32_e32 vcc_lo, s14, v8
	s_delay_alu instid0(VALU_DEP_2) | instskip(NEXT) | instid1(VALU_DEP_1)
	v_dual_cndmask_b32 v8, v8, v10 :: v_dual_cndmask_b32 v1, v1, v9
	v_cmp_le_u32_e32 vcc_lo, s14, v8
	s_delay_alu instid0(VALU_DEP_2) | instskip(NEXT) | instid1(VALU_DEP_1)
	v_add_nc_u32_e32 v9, 1, v1
	v_cndmask_b32_e32 v10, v1, v9, vcc_lo
.LBB13_22:                              ;   in Loop: Header=BB13_17 Depth=3
	s_or_b32 exec_lo, exec_lo, s3
	global_load_b64 v[8:9], v[6:7], off
	v_dual_sub_nc_u32 v1, 0, v12 :: v_dual_mov_b32 v15, v0
	v_not_b32_e32 v10, v10
	s_mov_b32 s51, 0
	s_delay_alu instid0(VALU_DEP_2) | instskip(NEXT) | instid1(VALU_DEP_1)
	v_dual_mov_b32 v25, v22 :: v_dual_max_i32 v14, v12, v1
	v_mul_u64_e32 v[26:27], s[26:27], v[14:15]
	s_delay_alu instid0(VALU_DEP_1) | instskip(NEXT) | instid1(VALU_DEP_1)
	v_mul_lo_u32 v1, v27, s43
	v_dual_add_nc_u32 v11, 1, v27 :: v_dual_sub_nc_u32 v1, v14, v1
	s_delay_alu instid0(VALU_DEP_1) | instskip(NEXT) | instid1(VALU_DEP_2)
	v_cmp_le_u32_e32 vcc_lo, s43, v1
	v_cndmask_b32_e32 v11, v27, v11, vcc_lo
	v_subrev_nc_u32_e32 v13, s43, v1
	s_delay_alu instid0(VALU_DEP_1) | instskip(NEXT) | instid1(VALU_DEP_1)
	v_dual_cndmask_b32 v1, v1, v13 :: v_dual_ashrrev_i32 v14, 31, v12
	v_dual_add_nc_u32 v13, 1, v11 :: v_dual_bitop2_b32 v14, s15, v14 bitop3:0x14
	s_delay_alu instid0(VALU_DEP_2) | instskip(NEXT) | instid1(VALU_DEP_2)
	v_cmp_le_u32_e32 vcc_lo, s43, v1
	v_cndmask_b32_e32 v1, v11, v13, vcc_lo
	s_delay_alu instid0(VALU_DEP_1) | instskip(NEXT) | instid1(VALU_DEP_1)
	v_xor_b32_e32 v1, v1, v14
	v_sub_nc_u32_e32 v1, v1, v14
	s_delay_alu instid0(VALU_DEP_1) | instskip(NEXT) | instid1(VALU_DEP_1)
	v_mul_lo_u32 v11, v1, s6
	v_sub_nc_u32_e32 v11, v12, v11
	s_delay_alu instid0(VALU_DEP_1) | instskip(NEXT) | instid1(VALU_DEP_1)
	v_mul_lo_u32 v11, v11, s4
	v_dual_mov_b32 v13, v0 :: v_dual_sub_nc_u32 v12, 0, v11
	s_delay_alu instid0(VALU_DEP_1) | instskip(SKIP_1) | instid1(VALU_DEP_2)
	v_dual_ashrrev_i32 v11, 31, v11 :: v_dual_max_i32 v12, v11, v12
	v_mul_lo_u32 v1, v1, s4
	v_mul_u64_e32 v[14:15], s[26:27], v[12:13]
	s_delay_alu instid0(VALU_DEP_3) | instskip(NEXT) | instid1(VALU_DEP_2)
	v_xor_b32_e32 v11, s15, v11
	v_mul_lo_u32 v13, v15, s43
	s_delay_alu instid0(VALU_DEP_1) | instskip(NEXT) | instid1(VALU_DEP_1)
	v_dual_sub_nc_u32 v12, v12, v13 :: v_dual_add_nc_u32 v13, 1, v15
	v_subrev_nc_u32_e32 v14, s43, v12
	v_cmp_le_u32_e32 vcc_lo, s43, v12
	s_delay_alu instid0(VALU_DEP_2) | instskip(NEXT) | instid1(VALU_DEP_1)
	v_dual_cndmask_b32 v13, v15, v13 :: v_dual_cndmask_b32 v12, v12, v14
	v_add_nc_u32_e32 v14, 1, v13
	s_delay_alu instid0(VALU_DEP_2) | instskip(NEXT) | instid1(VALU_DEP_2)
	v_cmp_le_u32_e32 vcc_lo, s43, v12
	v_cndmask_b32_e32 v12, v13, v14, vcc_lo
	s_delay_alu instid0(VALU_DEP_1) | instskip(NEXT) | instid1(VALU_DEP_1)
	v_xor_b32_e32 v12, v12, v11
	v_sub_nc_u32_e32 v11, v12, v11
	s_delay_alu instid0(VALU_DEP_1) | instskip(NEXT) | instid1(VALU_DEP_1)
	v_add3_u32 v1, v11, v1, v10
	v_cvt_f64_i32_e32 v[10:11], v1
	v_add_nc_u32_e32 v1, 1, v22
	s_delay_alu instid0(VALU_DEP_1)
	v_mad_nc_i64_i32 v[12:13], s20, v1, -1
	s_branch .LBB13_24
.LBB13_23:                              ;   in Loop: Header=BB13_24 Depth=4
	s_or_b32 exec_lo, exec_lo, s3
	v_dual_add_nc_u32 v1, v5, v25 :: v_dual_mov_b32 v35, v0
	s_delay_alu instid0(VALU_DEP_2) | instskip(SKIP_4) | instid1(VALU_DEP_1)
	v_not_b32_e32 v14, v14
	v_add_nc_u64_e32 v[12:13], s[20:21], v[12:13]
	global_load_b64 v[26:27], v1, s[10:11] scale_offset
	s_wait_xcnt 0x0
	v_sub_nc_u32_e32 v1, 0, v25
	v_max_i32_e32 v34, v25, v1
	s_wait_loadcnt 0x0
	v_div_scale_f64 v[28:29], null, v[10:11], v[10:11], v[26:27]
	s_delay_alu instid0(VALU_DEP_1) | instskip(SKIP_1) | instid1(TRANS32_DEP_1)
	v_rcp_f64_e32 v[30:31], v[28:29]
	v_nop
	v_fma_f64 v[32:33], -v[28:29], v[30:31], 1.0
	s_delay_alu instid0(VALU_DEP_1) | instskip(SKIP_1) | instid1(VALU_DEP_2)
	v_fmac_f64_e32 v[30:31], v[30:31], v[32:33]
	v_mul_u64_e32 v[32:33], s[28:29], v[34:35]
	v_fma_f64 v[36:37], -v[28:29], v[30:31], 1.0
	s_delay_alu instid0(VALU_DEP_2) | instskip(NEXT) | instid1(VALU_DEP_2)
	v_mul_lo_u32 v1, v33, s44
	v_fmac_f64_e32 v[30:31], v[30:31], v[36:37]
	s_delay_alu instid0(VALU_DEP_2) | instskip(NEXT) | instid1(VALU_DEP_1)
	v_dual_sub_nc_u32 v1, v34, v1 :: v_dual_mov_b32 v37, v0
	v_subrev_nc_u32_e32 v32, s44, v1
	v_cmp_le_u32_e32 vcc_lo, s44, v1
	s_delay_alu instid0(VALU_DEP_2) | instskip(NEXT) | instid1(VALU_DEP_1)
	v_dual_add_nc_u32 v15, 1, v33 :: v_dual_cndmask_b32 v1, v1, v32, vcc_lo
	v_cndmask_b32_e32 v15, v33, v15, vcc_lo
	s_delay_alu instid0(VALU_DEP_2) | instskip(NEXT) | instid1(VALU_DEP_2)
	v_cmp_le_u32_e32 vcc_lo, s44, v1
	v_dual_add_nc_u32 v32, 1, v15 :: v_dual_ashrrev_i32 v33, 31, v25
	s_delay_alu instid0(VALU_DEP_1) | instskip(SKIP_1) | instid1(VALU_DEP_2)
	v_dual_cndmask_b32 v1, v15, v32, vcc_lo :: v_dual_bitop2_b32 v34, s19, v33 bitop3:0x14
	v_div_scale_f64 v[32:33], vcc_lo, v[26:27], v[10:11], v[26:27]
	v_xor_b32_e32 v1, v1, v34
	s_delay_alu instid0(VALU_DEP_1) | instskip(NEXT) | instid1(VALU_DEP_1)
	v_sub_nc_u32_e32 v1, v1, v34
	v_mad_u32 v15, s45, v1, v25
	v_add_nc_u32_e32 v25, 1, v25
	s_delay_alu instid0(VALU_DEP_2) | instskip(SKIP_1) | instid1(VALU_DEP_2)
	v_mul_lo_u32 v15, v15, s5
	v_mul_f64_e32 v[34:35], v[32:33], v[30:31]
	v_sub_nc_u32_e32 v36, 0, v15
	s_delay_alu instid0(VALU_DEP_1) | instskip(SKIP_1) | instid1(VALU_DEP_2)
	v_max_i32_e32 v36, v15, v36
	v_mul_lo_u32 v1, v1, s5
	v_mul_u64_e32 v[38:39], s[28:29], v[36:37]
	v_fma_f64 v[28:29], -v[28:29], v[34:35], v[32:33]
	s_delay_alu instid0(VALU_DEP_2) | instskip(NEXT) | instid1(VALU_DEP_1)
	v_mul_lo_u32 v32, v39, s44
	v_dual_add_nc_u32 v33, 1, v39 :: v_dual_sub_nc_u32 v32, v36, v32
	s_delay_alu instid0(VALU_DEP_1) | instskip(NEXT) | instid1(VALU_DEP_4)
	v_subrev_nc_u32_e32 v36, s44, v32
	v_div_fmas_f64 v[28:29], v[28:29], v[30:31], v[34:35]
	v_cmp_le_u32_e32 vcc_lo, s44, v32
	s_delay_alu instid0(VALU_DEP_3) | instskip(NEXT) | instid1(VALU_DEP_1)
	v_dual_ashrrev_i32 v15, 31, v15 :: v_dual_cndmask_b32 v31, v32, v36, vcc_lo
	v_dual_cndmask_b32 v30, v39, v33, vcc_lo :: v_dual_bitop2_b32 v15, s19, v15 bitop3:0x14
	s_delay_alu instid0(VALU_DEP_2) | instskip(NEXT) | instid1(VALU_DEP_2)
	v_cmp_le_u32_e32 vcc_lo, s44, v31
	v_add_nc_u32_e32 v32, 1, v30
	s_delay_alu instid0(VALU_DEP_1) | instskip(NEXT) | instid1(VALU_DEP_1)
	v_cndmask_b32_e32 v30, v30, v32, vcc_lo
	v_xor_b32_e32 v30, v30, v15
	s_delay_alu instid0(VALU_DEP_1) | instskip(NEXT) | instid1(VALU_DEP_1)
	v_sub_nc_u32_e32 v15, v30, v15
	v_add3_u32 v1, v15, v1, v14
	v_div_fixup_f64 v[26:27], v[28:29], v[10:11], v[26:27]
	s_delay_alu instid0(VALU_DEP_2) | instskip(NEXT) | instid1(VALU_DEP_1)
	v_cvt_f64_i32_e32 v[14:15], v1
	v_div_scale_f64 v[28:29], null, v[14:15], v[14:15], v[26:27]
	s_delay_alu instid0(VALU_DEP_1) | instskip(SKIP_1) | instid1(TRANS32_DEP_1)
	v_rcp_f64_e32 v[30:31], v[28:29]
	v_nop
	v_fma_f64 v[32:33], -v[28:29], v[30:31], 1.0
	s_delay_alu instid0(VALU_DEP_1) | instskip(NEXT) | instid1(VALU_DEP_1)
	v_fmac_f64_e32 v[30:31], v[30:31], v[32:33]
	v_fma_f64 v[32:33], -v[28:29], v[30:31], 1.0
	s_delay_alu instid0(VALU_DEP_1) | instskip(SKIP_1) | instid1(VALU_DEP_1)
	v_fmac_f64_e32 v[30:31], v[30:31], v[32:33]
	v_div_scale_f64 v[32:33], vcc_lo, v[26:27], v[14:15], v[26:27]
	v_mul_f64_e32 v[34:35], v[32:33], v[30:31]
	s_delay_alu instid0(VALU_DEP_1) | instskip(NEXT) | instid1(VALU_DEP_1)
	v_fma_f64 v[28:29], -v[28:29], v[34:35], v[32:33]
	v_div_fmas_f64 v[28:29], v[28:29], v[30:31], v[34:35]
	v_cmp_ge_i32_e32 vcc_lo, v25, v23
	s_or_b32 s51, vcc_lo, s51
	s_delay_alu instid0(VALU_DEP_2) | instskip(NEXT) | instid1(VALU_DEP_1)
	v_div_fixup_f64 v[14:15], v[28:29], v[14:15], v[26:27]
	v_add_f64_e32 v[8:9], v[8:9], v[14:15]
	global_store_b64 v[6:7], v[8:9], off
	s_wait_xcnt 0x0
	s_and_not1_b32 exec_lo, exec_lo, s51
	s_cbranch_execz .LBB13_16
.LBB13_24:                              ;   Parent Loop BB13_3 Depth=1
                                        ;     Parent Loop BB13_10 Depth=2
                                        ;       Parent Loop BB13_17 Depth=3
                                        ; =>      This Inner Loop Header: Depth=4
	s_delay_alu instid0(VALU_DEP_1) | instskip(SKIP_2) | instid1(VALU_DEP_1)
	v_or_b32_e32 v1, s19, v13
                                        ; implicit-def: $vgpr14_vgpr15
	s_mov_b32 s3, exec_lo
	s_wait_xcnt 0x0
	v_cmpx_ne_u64_e32 0, v[0:1]
	s_xor_b32 s52, exec_lo, s3
	s_cbranch_execz .LBB13_26
; %bb.25:                               ;   in Loop: Header=BB13_24 Depth=4
	s_ashr_i32 s36, s19, 31
	v_dual_mov_b32 v29, v0 :: v_dual_ashrrev_i32 v14, 31, v13
	s_mov_b32 s37, s36
	v_mov_b32_e32 v33, v0
	s_add_nc_u64 s[38:39], s[18:19], s[36:37]
	s_delay_alu instid0(VALU_DEP_2)
	v_mov_b32_e32 v15, v14
	s_xor_b64 s[38:39], s[38:39], s[36:37]
	v_mov_b32_e32 v37, v0
	s_cvt_f32_u32 s3, s38
	s_cvt_f32_u32 s8, s39
	s_sub_nc_u64 s[56:57], 0, s[38:39]
	v_add_nc_u64_e32 v[26:27], v[12:13], v[14:15]
	s_delay_alu instid0(SALU_CYCLE_1) | instskip(NEXT) | instid1(SALU_CYCLE_3)
	s_fmamk_f32 s3, s8, 0x4f800000, s3
	v_s_rcp_f32 s3, s3
	s_delay_alu instid0(VALU_DEP_1) | instskip(NEXT) | instid1(VALU_DEP_2)
	v_xor_b32_e32 v28, v26, v14
	v_xor_b32_e32 v32, v27, v14
	s_delay_alu instid0(TRANS32_DEP_1) | instskip(NEXT) | instid1(SALU_CYCLE_3)
	s_mul_f32 s3, s3, 0x5f7ffffc
	s_mul_f32 s8, s3, 0x2f800000
	s_delay_alu instid0(SALU_CYCLE_3) | instskip(NEXT) | instid1(SALU_CYCLE_3)
	s_trunc_f32 s8, s8
	s_fmamk_f32 s3, s8, 0xcf800000, s3
	s_cvt_u32_f32 s55, s8
	s_delay_alu instid0(SALU_CYCLE_2) | instskip(NEXT) | instid1(SALU_CYCLE_3)
	s_cvt_u32_f32 s54, s3
	s_mul_u64 s[58:59], s[56:57], s[54:55]
	s_delay_alu instid0(SALU_CYCLE_1)
	s_mul_hi_u32 s61, s54, s59
	s_mul_i32 s60, s54, s59
	s_mul_hi_u32 s8, s54, s58
	s_mul_i32 s37, s55, s58
	s_add_nc_u64 s[60:61], s[8:9], s[60:61]
	s_mul_hi_u32 s3, s55, s58
	s_mul_hi_u32 s53, s55, s59
	s_add_co_u32 s8, s60, s37
	s_add_co_ci_u32 s8, s61, s3
	s_mul_i32 s58, s55, s59
	s_add_co_ci_u32 s59, s53, 0
	s_delay_alu instid0(SALU_CYCLE_1) | instskip(NEXT) | instid1(SALU_CYCLE_1)
	s_add_nc_u64 s[58:59], s[8:9], s[58:59]
	s_add_co_u32 s54, s54, s58
	s_cselect_b32 s3, -1, 0
	s_delay_alu instid0(SALU_CYCLE_1) | instskip(SKIP_1) | instid1(SALU_CYCLE_1)
	s_cmp_lg_u32 s3, 0
	s_add_co_ci_u32 s55, s55, s59
	s_mul_u64 s[56:57], s[56:57], s[54:55]
	s_delay_alu instid0(SALU_CYCLE_1)
	s_mul_hi_u32 s59, s54, s57
	s_mul_i32 s58, s54, s57
	s_mul_hi_u32 s8, s54, s56
	s_mul_i32 s37, s55, s56
	s_add_nc_u64 s[58:59], s[8:9], s[58:59]
	s_mul_hi_u32 s3, s55, s56
	s_mul_hi_u32 s53, s55, s57
	s_add_co_u32 s8, s58, s37
	s_add_co_ci_u32 s8, s59, s3
	s_mul_i32 s56, s55, s57
	s_add_co_ci_u32 s57, s53, 0
	s_delay_alu instid0(SALU_CYCLE_1) | instskip(NEXT) | instid1(SALU_CYCLE_1)
	s_add_nc_u64 s[56:57], s[8:9], s[56:57]
	s_add_co_u32 s54, s54, s56
	s_cselect_b32 s3, -1, 0
	v_mul_hi_u32 v36, v28, s54
	s_cmp_lg_u32 s3, 0
	s_add_co_ci_u32 s8, s55, s57
	s_and_b64 s[56:57], s[54:55], s[30:31]
	v_mul_u64_e32 v[30:31], s[8:9], v[28:29]
	v_mul_u64_e32 v[26:27], s[56:57], v[32:33]
	;; [unrolled: 1-line block ×3, first 2 shown]
	s_delay_alu instid0(VALU_DEP_3) | instskip(NEXT) | instid1(VALU_DEP_1)
	v_add_nc_u64_e32 v[30:31], v[36:37], v[30:31]
	v_add_co_u32 v1, vcc_lo, v30, v26
	s_delay_alu instid0(VALU_DEP_2) | instskip(NEXT) | instid1(VALU_DEP_4)
	v_add_co_ci_u32_e32 v36, vcc_lo, v31, v27, vcc_lo
	v_add_co_ci_u32_e32 v35, vcc_lo, 0, v35, vcc_lo
	s_delay_alu instid0(VALU_DEP_1) | instskip(NEXT) | instid1(VALU_DEP_1)
	v_add_nc_u64_e32 v[26:27], v[36:37], v[34:35]
	v_mul_u64_e32 v[30:31], s[38:39], v[26:27]
	s_delay_alu instid0(VALU_DEP_1) | instskip(NEXT) | instid1(VALU_DEP_2)
	v_sub_nc_u32_e32 v1, v32, v31
	v_sub_co_u32 v15, vcc_lo, v28, v30
	s_delay_alu instid0(VALU_DEP_1) | instskip(NEXT) | instid1(VALU_DEP_3)
	v_sub_co_ci_u32_e64 v32, null, v32, v31, vcc_lo
	v_subrev_co_ci_u32_e64 v1, null, s39, v1, vcc_lo
	s_delay_alu instid0(VALU_DEP_3) | instskip(SKIP_1) | instid1(VALU_DEP_3)
	v_sub_co_u32 v28, s3, v15, s38
	v_add_nc_u64_e32 v[30:31], 1, v[26:27]
	v_subrev_co_ci_u32_e64 v1, null, 0, v1, s3
	s_delay_alu instid0(VALU_DEP_3) | instskip(SKIP_1) | instid1(VALU_DEP_3)
	v_cmp_le_u32_e32 vcc_lo, s38, v28
	v_cndmask_b32_e64 v28, 0, -1, vcc_lo
	v_cmp_le_u32_e32 vcc_lo, s39, v1
	v_cndmask_b32_e64 v29, 0, -1, vcc_lo
	;; [unrolled: 2-line block ×4, first 2 shown]
	v_cmp_eq_u32_e32 vcc_lo, s39, v1
	v_cndmask_b32_e32 v1, v29, v28, vcc_lo
	v_cmp_eq_u32_e32 vcc_lo, s39, v32
	v_add_nc_u64_e32 v[28:29], 2, v[26:27]
	v_cndmask_b32_e32 v15, v33, v15, vcc_lo
	s_delay_alu instid0(VALU_DEP_4) | instskip(NEXT) | instid1(VALU_DEP_3)
	v_cmp_ne_u32_e32 vcc_lo, 0, v1
	v_cndmask_b32_e32 v1, v31, v29, vcc_lo
	s_delay_alu instid0(VALU_DEP_3) | instskip(SKIP_1) | instid1(VALU_DEP_1)
	v_cmp_ne_u32_e64 s3, 0, v15
	v_dual_cndmask_b32 v15, v30, v28, vcc_lo :: v_dual_bitop2_b32 v14, s36, v14 bitop3:0x14
	v_dual_cndmask_b32 v1, v27, v1, s3 :: v_dual_cndmask_b32 v26, v26, v15, s3
	s_delay_alu instid0(VALU_DEP_1) | instskip(NEXT) | instid1(VALU_DEP_2)
	v_dual_mov_b32 v15, v14 :: v_dual_bitop2_b32 v27, v1, v14 bitop3:0x14
	v_xor_b32_e32 v26, v26, v14
	s_delay_alu instid0(VALU_DEP_1)
	v_sub_nc_u64_e32 v[14:15], v[26:27], v[14:15]
.LBB13_26:                              ;   in Loop: Header=BB13_24 Depth=4
	s_and_not1_saveexec_b32 s3, s52
	s_cbranch_execz .LBB13_23
; %bb.27:                               ;   in Loop: Header=BB13_24 Depth=4
	v_cvt_f32_u32_e32 v1, s18
	s_sub_co_i32 s8, 0, s18
	s_delay_alu instid0(VALU_DEP_1) | instskip(SKIP_1) | instid1(TRANS32_DEP_1)
	v_rcp_iflag_f32_e32 v1, v1
	v_nop
	v_mul_f32_e32 v1, 0x4f7ffffe, v1
	s_delay_alu instid0(VALU_DEP_1) | instskip(NEXT) | instid1(VALU_DEP_1)
	v_cvt_u32_f32_e32 v1, v1
	v_mul_lo_u32 v14, s8, v1
	s_delay_alu instid0(VALU_DEP_1) | instskip(NEXT) | instid1(VALU_DEP_1)
	v_mul_hi_u32 v14, v1, v14
	v_add_nc_u32_e32 v1, v1, v14
	s_delay_alu instid0(VALU_DEP_1) | instskip(NEXT) | instid1(VALU_DEP_1)
	v_mul_hi_u32 v1, v12, v1
	v_mul_lo_u32 v14, v1, s18
	s_delay_alu instid0(VALU_DEP_1) | instskip(NEXT) | instid1(VALU_DEP_1)
	v_sub_nc_u32_e32 v14, v12, v14
	v_subrev_nc_u32_e32 v26, s18, v14
	v_cmp_le_u32_e32 vcc_lo, s18, v14
	s_delay_alu instid0(VALU_DEP_2) | instskip(NEXT) | instid1(VALU_DEP_1)
	v_dual_cndmask_b32 v14, v14, v26 :: v_dual_add_nc_u32 v15, 1, v1
	v_cndmask_b32_e32 v1, v1, v15, vcc_lo
	s_delay_alu instid0(VALU_DEP_2) | instskip(NEXT) | instid1(VALU_DEP_2)
	v_cmp_le_u32_e32 vcc_lo, s18, v14
	v_add_nc_u32_e32 v15, 1, v1
	s_delay_alu instid0(VALU_DEP_1)
	v_cndmask_b32_e32 v14, v1, v15, vcc_lo
	s_branch .LBB13_23
.LBB13_28:
	s_endpgm
	.section	.rodata,"a",@progbits
	.p2align	6, 0x0
	.amdhsa_kernel _ZN2at6native12_GLOBAL__N_126adaptive_average_gradinputIdEEvPT_PKS3_iiii
		.amdhsa_group_segment_fixed_size 0
		.amdhsa_private_segment_fixed_size 0
		.amdhsa_kernarg_size 288
		.amdhsa_user_sgpr_count 2
		.amdhsa_user_sgpr_dispatch_ptr 0
		.amdhsa_user_sgpr_queue_ptr 0
		.amdhsa_user_sgpr_kernarg_segment_ptr 1
		.amdhsa_user_sgpr_dispatch_id 0
		.amdhsa_user_sgpr_kernarg_preload_length 0
		.amdhsa_user_sgpr_kernarg_preload_offset 0
		.amdhsa_user_sgpr_private_segment_size 0
		.amdhsa_wavefront_size32 1
		.amdhsa_uses_dynamic_stack 0
		.amdhsa_enable_private_segment 0
		.amdhsa_system_sgpr_workgroup_id_x 1
		.amdhsa_system_sgpr_workgroup_id_y 1
		.amdhsa_system_sgpr_workgroup_id_z 0
		.amdhsa_system_sgpr_workgroup_info 0
		.amdhsa_system_vgpr_workitem_id 1
		.amdhsa_next_free_vgpr 40
		.amdhsa_next_free_sgpr 62
		.amdhsa_named_barrier_count 0
		.amdhsa_reserve_vcc 1
		.amdhsa_float_round_mode_32 0
		.amdhsa_float_round_mode_16_64 0
		.amdhsa_float_denorm_mode_32 3
		.amdhsa_float_denorm_mode_16_64 3
		.amdhsa_fp16_overflow 0
		.amdhsa_memory_ordered 1
		.amdhsa_forward_progress 1
		.amdhsa_inst_pref_size 40
		.amdhsa_round_robin_scheduling 0
		.amdhsa_exception_fp_ieee_invalid_op 0
		.amdhsa_exception_fp_denorm_src 0
		.amdhsa_exception_fp_ieee_div_zero 0
		.amdhsa_exception_fp_ieee_overflow 0
		.amdhsa_exception_fp_ieee_underflow 0
		.amdhsa_exception_fp_ieee_inexact 0
		.amdhsa_exception_int_div_zero 0
	.end_amdhsa_kernel
	.section	.text._ZN2at6native12_GLOBAL__N_126adaptive_average_gradinputIdEEvPT_PKS3_iiii,"axG",@progbits,_ZN2at6native12_GLOBAL__N_126adaptive_average_gradinputIdEEvPT_PKS3_iiii,comdat
.Lfunc_end13:
	.size	_ZN2at6native12_GLOBAL__N_126adaptive_average_gradinputIdEEvPT_PKS3_iiii, .Lfunc_end13-_ZN2at6native12_GLOBAL__N_126adaptive_average_gradinputIdEEvPT_PKS3_iiii
                                        ; -- End function
	.set _ZN2at6native12_GLOBAL__N_126adaptive_average_gradinputIdEEvPT_PKS3_iiii.num_vgpr, 40
	.set _ZN2at6native12_GLOBAL__N_126adaptive_average_gradinputIdEEvPT_PKS3_iiii.num_agpr, 0
	.set _ZN2at6native12_GLOBAL__N_126adaptive_average_gradinputIdEEvPT_PKS3_iiii.numbered_sgpr, 62
	.set _ZN2at6native12_GLOBAL__N_126adaptive_average_gradinputIdEEvPT_PKS3_iiii.num_named_barrier, 0
	.set _ZN2at6native12_GLOBAL__N_126adaptive_average_gradinputIdEEvPT_PKS3_iiii.private_seg_size, 0
	.set _ZN2at6native12_GLOBAL__N_126adaptive_average_gradinputIdEEvPT_PKS3_iiii.uses_vcc, 1
	.set _ZN2at6native12_GLOBAL__N_126adaptive_average_gradinputIdEEvPT_PKS3_iiii.uses_flat_scratch, 0
	.set _ZN2at6native12_GLOBAL__N_126adaptive_average_gradinputIdEEvPT_PKS3_iiii.has_dyn_sized_stack, 0
	.set _ZN2at6native12_GLOBAL__N_126adaptive_average_gradinputIdEEvPT_PKS3_iiii.has_recursion, 0
	.set _ZN2at6native12_GLOBAL__N_126adaptive_average_gradinputIdEEvPT_PKS3_iiii.has_indirect_call, 0
	.section	.AMDGPU.csdata,"",@progbits
; Kernel info:
; codeLenInByte = 5076
; TotalNumSgprs: 64
; NumVgprs: 40
; ScratchSize: 0
; MemoryBound: 0
; FloatMode: 240
; IeeeMode: 1
; LDSByteSize: 0 bytes/workgroup (compile time only)
; SGPRBlocks: 0
; VGPRBlocks: 2
; NumSGPRsForWavesPerEU: 64
; NumVGPRsForWavesPerEU: 40
; NamedBarCnt: 0
; Occupancy: 16
; WaveLimiterHint : 0
; COMPUTE_PGM_RSRC2:SCRATCH_EN: 0
; COMPUTE_PGM_RSRC2:USER_SGPR: 2
; COMPUTE_PGM_RSRC2:TRAP_HANDLER: 0
; COMPUTE_PGM_RSRC2:TGID_X_EN: 1
; COMPUTE_PGM_RSRC2:TGID_Y_EN: 1
; COMPUTE_PGM_RSRC2:TGID_Z_EN: 0
; COMPUTE_PGM_RSRC2:TIDIG_COMP_CNT: 1
	.section	.text._ZN2at6native12_GLOBAL__N_133atomic_adaptive_average_gradinputIfEEvPT_PKS3_iiii,"axG",@progbits,_ZN2at6native12_GLOBAL__N_133atomic_adaptive_average_gradinputIfEEvPT_PKS3_iiii,comdat
	.globl	_ZN2at6native12_GLOBAL__N_133atomic_adaptive_average_gradinputIfEEvPT_PKS3_iiii ; -- Begin function _ZN2at6native12_GLOBAL__N_133atomic_adaptive_average_gradinputIfEEvPT_PKS3_iiii
	.p2align	8
	.type	_ZN2at6native12_GLOBAL__N_133atomic_adaptive_average_gradinputIfEEvPT_PKS3_iiii,@function
_ZN2at6native12_GLOBAL__N_133atomic_adaptive_average_gradinputIfEEvPT_PKS3_iiii: ; @_ZN2at6native12_GLOBAL__N_133atomic_adaptive_average_gradinputIfEEvPT_PKS3_iiii
; %bb.0:
	s_clause 0x1
	s_load_b32 s2, s[0:1], 0x2c
	s_load_b128 s[4:7], s[0:1], 0x10
	s_bfe_u32 s3, ttmp6, 0x40010
	s_bfe_u32 s8, ttmp6, 0x40004
	s_add_co_i32 s3, s3, 1
	s_getreg_b32 s14, hwreg(HW_REG_IB_STS2, 6, 4)
	s_mul_i32 s3, ttmp7, s3
	v_bfe_u32 v1, v0, 10, 10
	s_add_co_i32 s8, s8, s3
	s_wait_kmcnt 0x0
	s_lshr_b32 s13, s2, 16
	s_cmp_eq_u32 s14, 0
	s_cselect_b32 s3, ttmp7, s8
	s_mov_b32 s8, exec_lo
	v_mad_u32 v10, s3, s13, v1
	s_mov_b32 s3, 0
	s_delay_alu instid0(VALU_DEP_1)
	v_cmpx_gt_i32_e64 s6, v10
	s_cbranch_execz .LBB14_20
; %bb.1:
	s_load_b128 s[8:11], s[0:1], 0x0
	s_add_nc_u64 s[16:17], s[0:1], 32
	s_wait_xcnt 0x0
	s_bfe_u32 s0, ttmp6, 0x4000c
	s_and_b32 s1, ttmp6, 15
	s_add_co_i32 s0, s0, 1
	s_mov_b32 s12, s6
	s_mul_i32 s0, ttmp9, s0
	v_cvt_f32_u32_e32 v1, s12
	s_add_co_i32 s1, s1, s0
	s_cmp_eq_u32 s14, 0
	v_and_b32_e32 v11, 0x3ff, v0
	s_cselect_b32 s0, ttmp9, s1
	s_abs_i32 s33, s6
	s_mul_i32 s1, s6, s0
	s_mul_i32 s14, s4, s0
	;; [unrolled: 1-line block ×3, first 2 shown]
	v_rcp_iflag_f32_e32 v1, v1
	s_cvt_f32_u32 s15, s33
	s_ashr_i32 s1, s0, 31
	s_abs_i32 s35, s7
	s_lshl_b64 s[0:1], s[0:1], 2
	v_rcp_iflag_f32_e32 v2, s15
	s_wait_kmcnt 0x0
	s_add_nc_u64 s[10:11], s[10:11], s[0:1]
	s_cvt_f32_u32 s0, s35
	v_mul_f32_e32 v1, 0x4f7ffffe, v1
	s_load_b32 s34, s[16:17], 0x4
	s_wait_xcnt 0x0
	s_sub_co_i32 s16, 0, s6
	v_rcp_iflag_f32_e32 v0, s0
	v_readfirstlane_b32 s1, v2
	v_cvt_u32_f32_e32 v2, v1
	s_and_b32 s36, s2, 0xffff
	s_sub_co_i32 s18, 0, s33
	s_mul_i32 s22, s14, s5
	s_mul_f32 s1, s1, 0x4f7ffffe
	v_readfirstlane_b32 s2, v0
	v_mul_lo_u32 v0, s16, v2
	s_sub_co_i32 s19, 0, s35
	s_cvt_u32_f32 s1, s1
	s_ashr_i32 s23, s22, 31
	s_mul_f32 s2, s2, 0x4f7ffffe
	v_cmp_gt_i32_e64 s0, s7, v11
	s_mul_i32 s18, s18, s1
	v_mov_b32_e32 v1, 0
	s_cvt_u32_f32 s2, s2
	s_mul_hi_u32 s18, s1, s18
	s_wait_kmcnt 0x0
	s_mul_i32 s34, s34, s13
	v_mul_hi_u32 v0, v2, v0
	s_mul_i32 s19, s19, s2
	s_ashr_i32 s13, s6, 31
	s_ashr_i32 s15, s5, 31
	s_mov_b32 s14, s5
	s_ashr_i32 s17, s7, 31
	s_add_co_i32 s18, s1, s18
	s_mul_hi_u32 s1, s2, s19
	s_lshl_b64 s[22:23], s[22:23], 2
	s_mov_b32 s16, s7
	s_mov_b32 s19, s3
	v_add_nc_u32_e32 v12, v2, v0
	s_add_co_i32 s20, s2, s1
	s_mov_b32 s21, s3
	s_add_nc_u64 s[8:9], s[8:9], s[22:23]
	s_lshl_b64 s[22:23], s[14:15], 2
	s_mov_b64 s[24:25], 0xffffffff
	s_ashr_i32 s26, s13, 31
	s_ashr_i32 s28, s17, 31
	s_mov_b32 s37, 0
	s_branch .LBB14_3
.LBB14_2:                               ;   in Loop: Header=BB14_3 Depth=1
	s_or_b32 exec_lo, exec_lo, s27
	v_add_nc_u32_e32 v10, s34, v10
	s_delay_alu instid0(VALU_DEP_1) | instskip(SKIP_1) | instid1(SALU_CYCLE_1)
	v_cmp_le_i32_e32 vcc_lo, s6, v10
	s_or_b32 s37, vcc_lo, s37
	s_and_not1_b32 exec_lo, exec_lo, s37
	s_cbranch_execz .LBB14_20
.LBB14_3:                               ; =>This Loop Header: Depth=1
                                        ;     Child Loop BB14_10 Depth 2
                                        ;       Child Loop BB14_17 Depth 3
                                        ;         Child Loop BB14_19 Depth 4
	v_dual_add_nc_u32 v0, 1, v10 :: v_dual_mov_b32 v4, v1
	s_delay_alu instid0(VALU_DEP_1) | instskip(NEXT) | instid1(VALU_DEP_1)
	v_mad_nc_i64_i32 v[2:3], v0, s4, -1
	v_or_b32_e32 v5, s13, v3
	s_delay_alu instid0(VALU_DEP_1) | instskip(SKIP_1) | instid1(SALU_CYCLE_1)
	v_cmp_ne_u64_e32 vcc_lo, 0, v[4:5]
                                        ; implicit-def: $vgpr4_vgpr5
	s_and_saveexec_b32 s1, vcc_lo
	s_xor_b32 s29, exec_lo, s1
	s_cbranch_execnz .LBB14_6
; %bb.4:                                ;   in Loop: Header=BB14_3 Depth=1
	s_and_not1_saveexec_b32 s1, s29
	s_cbranch_execnz .LBB14_7
.LBB14_5:                               ;   in Loop: Header=BB14_3 Depth=1
	s_or_b32 exec_lo, exec_lo, s1
	s_and_saveexec_b32 s27, s0
	s_cbranch_execz .LBB14_2
	s_branch .LBB14_8
.LBB14_6:                               ;   in Loop: Header=BB14_3 Depth=1
	s_mov_b32 s27, s26
	v_dual_mov_b32 v9, v1 :: v_dual_ashrrev_i32 v4, 31, v3
	s_add_nc_u64 s[30:31], s[12:13], s[26:27]
	v_mov_b32_e32 v17, v1
	s_xor_b64 s[30:31], s[30:31], s[26:27]
	s_delay_alu instid0(VALU_DEP_2) | instskip(SKIP_3) | instid1(VALU_DEP_1)
	v_mov_b32_e32 v5, v4
	s_cvt_f32_u32 s1, s30
	s_cvt_f32_u32 s2, s31
	s_sub_nc_u64 s[40:41], 0, s[30:31]
	v_add_nc_u64_e32 v[2:3], v[2:3], v[4:5]
	s_delay_alu instid0(SALU_CYCLE_1) | instskip(NEXT) | instid1(SALU_CYCLE_3)
	s_fmamk_f32 s1, s2, 0x4f800000, s1
	v_s_rcp_f32 s1, s1
	s_delay_alu instid0(VALU_DEP_1) | instskip(NEXT) | instid1(VALU_DEP_2)
	v_xor_b32_e32 v0, v2, v4
	v_xor_b32_e32 v8, v3, v4
	;; [unrolled: 1-line block ×3, first 2 shown]
	s_delay_alu instid0(TRANS32_DEP_1) | instskip(NEXT) | instid1(SALU_CYCLE_3)
	s_mul_f32 s1, s1, 0x5f7ffffc
	s_mul_f32 s2, s1, 0x2f800000
	s_delay_alu instid0(SALU_CYCLE_3) | instskip(NEXT) | instid1(SALU_CYCLE_3)
	s_trunc_f32 s2, s2
	s_fmamk_f32 s1, s2, 0xcf800000, s1
	s_cvt_u32_f32 s39, s2
	s_delay_alu instid0(SALU_CYCLE_2) | instskip(NEXT) | instid1(SALU_CYCLE_3)
	s_cvt_u32_f32 s38, s1
	s_mul_u64 s[42:43], s[40:41], s[38:39]
	s_delay_alu instid0(SALU_CYCLE_1)
	s_mul_hi_u32 s45, s38, s43
	s_mul_i32 s44, s38, s43
	s_mul_hi_u32 s2, s38, s42
	s_mul_i32 s27, s39, s42
	s_add_nc_u64 s[44:45], s[2:3], s[44:45]
	s_mul_hi_u32 s1, s39, s42
	s_mul_hi_u32 s46, s39, s43
	s_add_co_u32 s2, s44, s27
	s_add_co_ci_u32 s2, s45, s1
	s_mul_i32 s42, s39, s43
	s_add_co_ci_u32 s43, s46, 0
	s_delay_alu instid0(SALU_CYCLE_1) | instskip(NEXT) | instid1(SALU_CYCLE_1)
	s_add_nc_u64 s[42:43], s[2:3], s[42:43]
	s_add_co_u32 s38, s38, s42
	s_cselect_b32 s1, -1, 0
	s_delay_alu instid0(SALU_CYCLE_1) | instskip(SKIP_1) | instid1(SALU_CYCLE_1)
	s_cmp_lg_u32 s1, 0
	s_add_co_ci_u32 s39, s39, s43
	s_mul_u64 s[40:41], s[40:41], s[38:39]
	s_delay_alu instid0(SALU_CYCLE_1)
	s_mul_hi_u32 s43, s38, s41
	s_mul_i32 s42, s38, s41
	s_mul_hi_u32 s2, s38, s40
	s_mul_i32 s27, s39, s40
	s_add_nc_u64 s[42:43], s[2:3], s[42:43]
	s_mul_hi_u32 s1, s39, s40
	s_mul_hi_u32 s44, s39, s41
	s_add_co_u32 s2, s42, s27
	s_add_co_ci_u32 s2, s43, s1
	s_mul_i32 s40, s39, s41
	s_add_co_ci_u32 s41, s44, 0
	s_delay_alu instid0(SALU_CYCLE_1) | instskip(NEXT) | instid1(SALU_CYCLE_1)
	s_add_nc_u64 s[40:41], s[2:3], s[40:41]
	s_add_co_u32 s38, s38, s40
	s_cselect_b32 s1, -1, 0
	v_mul_hi_u32 v16, v0, s38
	s_cmp_lg_u32 s1, 0
	s_add_co_ci_u32 s2, s39, s41
	s_and_b64 s[40:41], s[38:39], s[24:25]
	v_mul_u64_e32 v[6:7], s[2:3], v[0:1]
	v_mul_u64_e32 v[2:3], s[40:41], v[8:9]
	;; [unrolled: 1-line block ×3, first 2 shown]
	s_delay_alu instid0(VALU_DEP_3) | instskip(NEXT) | instid1(VALU_DEP_1)
	v_add_nc_u64_e32 v[6:7], v[16:17], v[6:7]
	v_add_co_u32 v2, vcc_lo, v6, v2
	s_delay_alu instid0(VALU_DEP_2) | instskip(NEXT) | instid1(VALU_DEP_4)
	v_add_co_ci_u32_e32 v16, vcc_lo, v7, v3, vcc_lo
	v_add_co_ci_u32_e32 v15, vcc_lo, 0, v15, vcc_lo
	s_delay_alu instid0(VALU_DEP_1) | instskip(NEXT) | instid1(VALU_DEP_1)
	v_add_nc_u64_e32 v[2:3], v[16:17], v[14:15]
	v_mul_u64_e32 v[6:7], s[30:31], v[2:3]
	s_delay_alu instid0(VALU_DEP_1) | instskip(NEXT) | instid1(VALU_DEP_2)
	v_sub_nc_u32_e32 v5, v8, v7
	v_sub_co_u32 v0, vcc_lo, v0, v6
	s_delay_alu instid0(VALU_DEP_1) | instskip(NEXT) | instid1(VALU_DEP_3)
	v_sub_co_ci_u32_e64 v13, null, v8, v7, vcc_lo
	v_subrev_co_ci_u32_e64 v5, null, s31, v5, vcc_lo
	s_delay_alu instid0(VALU_DEP_3) | instskip(SKIP_1) | instid1(VALU_DEP_3)
	v_sub_co_u32 v6, s1, v0, s30
	v_add_nc_u64_e32 v[8:9], 1, v[2:3]
	v_subrev_co_ci_u32_e64 v5, null, 0, v5, s1
	s_delay_alu instid0(VALU_DEP_3) | instskip(SKIP_1) | instid1(VALU_DEP_3)
	v_cmp_le_u32_e32 vcc_lo, s30, v6
	v_cndmask_b32_e64 v6, 0, -1, vcc_lo
	v_cmp_le_u32_e32 vcc_lo, s31, v5
	v_cndmask_b32_e64 v7, 0, -1, vcc_lo
	;; [unrolled: 2-line block ×4, first 2 shown]
	v_cmp_eq_u32_e32 vcc_lo, s31, v5
	v_cndmask_b32_e32 v5, v7, v6, vcc_lo
	v_cmp_eq_u32_e32 vcc_lo, s31, v13
	v_add_nc_u64_e32 v[6:7], 2, v[2:3]
	v_cndmask_b32_e32 v0, v14, v0, vcc_lo
	s_delay_alu instid0(VALU_DEP_4) | instskip(NEXT) | instid1(VALU_DEP_2)
	v_cmp_ne_u32_e32 vcc_lo, 0, v5
	v_cmp_ne_u32_e64 s1, 0, v0
	s_delay_alu instid0(VALU_DEP_4) | instskip(NEXT) | instid1(VALU_DEP_1)
	v_dual_cndmask_b32 v5, v9, v7 :: v_dual_cndmask_b32 v0, v8, v6
	v_dual_cndmask_b32 v3, v3, v5, s1 :: v_dual_cndmask_b32 v0, v2, v0, s1
	s_delay_alu instid0(VALU_DEP_1) | instskip(NEXT) | instid1(VALU_DEP_2)
	v_dual_mov_b32 v5, v4 :: v_dual_bitop2_b32 v3, v3, v4 bitop3:0x14
	v_xor_b32_e32 v2, v0, v4
	s_delay_alu instid0(VALU_DEP_1)
	v_sub_nc_u64_e32 v[4:5], v[2:3], v[4:5]
                                        ; implicit-def: $vgpr2_vgpr3
	s_and_not1_saveexec_b32 s1, s29
	s_cbranch_execz .LBB14_5
.LBB14_7:                               ;   in Loop: Header=BB14_3 Depth=1
	s_delay_alu instid0(VALU_DEP_3) | instskip(NEXT) | instid1(VALU_DEP_1)
	v_mul_hi_u32 v0, v2, v12
	v_mul_lo_u32 v3, v0, s12
	s_delay_alu instid0(VALU_DEP_1) | instskip(NEXT) | instid1(VALU_DEP_1)
	v_dual_sub_nc_u32 v2, v2, v3 :: v_dual_add_nc_u32 v3, 1, v0
	v_subrev_nc_u32_e32 v4, s12, v2
	v_cmp_le_u32_e32 vcc_lo, s12, v2
	s_delay_alu instid0(VALU_DEP_2) | instskip(NEXT) | instid1(VALU_DEP_1)
	v_dual_cndmask_b32 v2, v2, v4, vcc_lo :: v_dual_cndmask_b32 v0, v0, v3, vcc_lo
	v_cmp_le_u32_e32 vcc_lo, s12, v2
	s_delay_alu instid0(VALU_DEP_2) | instskip(NEXT) | instid1(VALU_DEP_1)
	v_add_nc_u32_e32 v3, 1, v0
	v_cndmask_b32_e32 v4, v0, v3, vcc_lo
	s_or_b32 exec_lo, exec_lo, s1
	s_and_saveexec_b32 s27, s0
	s_cbranch_execz .LBB14_2
.LBB14_8:                               ;   in Loop: Header=BB14_3 Depth=1
	v_sub_nc_u32_e32 v0, 0, v10
	s_mov_b32 s38, 0
	s_delay_alu instid0(VALU_DEP_1) | instskip(NEXT) | instid1(VALU_DEP_1)
	v_max_i32_e32 v0, v10, v0
	v_mul_u64_e32 v[2:3], s[18:19], v[0:1]
	s_delay_alu instid0(VALU_DEP_1) | instskip(NEXT) | instid1(VALU_DEP_1)
	v_mul_lo_u32 v2, v3, s33
	v_dual_sub_nc_u32 v0, v0, v2 :: v_dual_add_nc_u32 v2, 1, v3
	s_delay_alu instid0(VALU_DEP_1) | instskip(SKIP_1) | instid1(VALU_DEP_3)
	v_subrev_nc_u32_e32 v5, s33, v0
	v_cmp_le_u32_e32 vcc_lo, s33, v0
	v_cndmask_b32_e32 v2, v3, v2, vcc_lo
	s_delay_alu instid0(VALU_DEP_3) | instskip(NEXT) | instid1(VALU_DEP_2)
	v_dual_cndmask_b32 v0, v0, v5 :: v_dual_ashrrev_i32 v3, 31, v10
	v_add_nc_u32_e32 v5, 1, v2
	s_delay_alu instid0(VALU_DEP_2) | instskip(NEXT) | instid1(VALU_DEP_2)
	v_cmp_le_u32_e32 vcc_lo, s33, v0
	v_dual_cndmask_b32 v0, v2, v5, vcc_lo :: v_dual_bitop2_b32 v3, s13, v3 bitop3:0x14
	s_delay_alu instid0(VALU_DEP_1) | instskip(NEXT) | instid1(VALU_DEP_1)
	v_xor_b32_e32 v0, v0, v3
	v_sub_nc_u32_e32 v5, v0, v3
	s_delay_alu instid0(VALU_DEP_1) | instskip(NEXT) | instid1(VALU_DEP_1)
	v_mul_lo_u32 v0, v5, s6
	v_sub_nc_u32_e32 v0, v10, v0
	s_delay_alu instid0(VALU_DEP_1) | instskip(NEXT) | instid1(VALU_DEP_1)
	v_mul_lo_u32 v6, v0, s4
	v_sub_nc_u32_e32 v0, 0, v6
	s_delay_alu instid0(VALU_DEP_1) | instskip(NEXT) | instid1(VALU_DEP_1)
	v_max_i32_e32 v0, v6, v0
	v_mul_u64_e32 v[2:3], s[18:19], v[0:1]
	s_delay_alu instid0(VALU_DEP_1) | instskip(NEXT) | instid1(VALU_DEP_1)
	v_mul_lo_u32 v2, v3, s33
	v_dual_sub_nc_u32 v0, v0, v2 :: v_dual_add_nc_u32 v2, 1, v3
	s_delay_alu instid0(VALU_DEP_1) | instskip(NEXT) | instid1(VALU_DEP_2)
	v_cmp_le_u32_e32 vcc_lo, s33, v0
	v_cndmask_b32_e32 v2, v3, v2, vcc_lo
	v_ashrrev_i32_e32 v3, 31, v6
	s_delay_alu instid0(VALU_DEP_2) | instskip(SKIP_1) | instid1(VALU_DEP_1)
	v_add_nc_u32_e32 v6, 1, v2
	v_subrev_nc_u32_e32 v7, s33, v0
	v_cndmask_b32_e32 v0, v0, v7, vcc_lo
	s_delay_alu instid0(VALU_DEP_1) | instskip(NEXT) | instid1(VALU_DEP_4)
	v_cmp_le_u32_e32 vcc_lo, s33, v0
	v_dual_cndmask_b32 v0, v2, v6, vcc_lo :: v_dual_bitop2_b32 v3, s13, v3 bitop3:0x14
	v_mul_lo_u32 v2, v10, s7
	s_delay_alu instid0(VALU_DEP_2) | instskip(NEXT) | instid1(VALU_DEP_1)
	v_xor_b32_e32 v0, v0, v3
	v_dual_sub_nc_u32 v0, v0, v3 :: v_dual_ashrrev_i32 v3, 31, v2
	s_delay_alu instid0(VALU_DEP_1) | instskip(NEXT) | instid1(VALU_DEP_2)
	v_mad_u32 v0, v5, s4, v0
	v_lshl_add_u64 v[2:3], v[2:3], 2, s[10:11]
	s_delay_alu instid0(VALU_DEP_2) | instskip(SKIP_1) | instid1(VALU_DEP_1)
	v_mul_lo_u32 v6, v0, s5
	v_sub_nc_u32_e32 v13, v4, v0
	v_dual_add_nc_u32 v0, 1, v13 :: v_dual_ashrrev_i32 v7, 31, v6
	s_delay_alu instid0(VALU_DEP_1) | instskip(SKIP_2) | instid1(VALU_DEP_4)
	v_cvt_f32_i32_e32 v14, v0
	v_mov_b32_e32 v0, v11
	v_cmp_gt_u32_e64 s1, 0x7fffffff, v13
	v_lshl_add_u64 v[4:5], v[6:7], 2, s[8:9]
	s_branch .LBB14_10
.LBB14_9:                               ;   in Loop: Header=BB14_10 Depth=2
	s_or_b32 exec_lo, exec_lo, s29
	v_add_nc_u32_e32 v0, s36, v0
	s_delay_alu instid0(VALU_DEP_1) | instskip(SKIP_1) | instid1(SALU_CYCLE_1)
	v_cmp_le_i32_e32 vcc_lo, s7, v0
	s_or_b32 s38, vcc_lo, s38
	s_and_not1_b32 exec_lo, exec_lo, s38
	s_cbranch_execz .LBB14_2
.LBB14_10:                              ;   Parent Loop BB14_3 Depth=1
                                        ; =>  This Loop Header: Depth=2
                                        ;       Child Loop BB14_17 Depth 3
                                        ;         Child Loop BB14_19 Depth 4
	s_delay_alu instid0(VALU_DEP_3) | instskip(NEXT) | instid1(VALU_DEP_1)
	v_add_nc_u32_e32 v6, 1, v0
	v_mad_nc_u64_u32 v[8:9], v6, s14, -1
	s_delay_alu instid0(VALU_DEP_1) | instskip(NEXT) | instid1(VALU_DEP_1)
	v_mad_u32 v9, v6, s15, v9
	v_dual_mov_b32 v6, v1 :: v_dual_bitop2_b32 v7, s17, v9 bitop3:0x54
	s_delay_alu instid0(VALU_DEP_1) | instskip(SKIP_1) | instid1(SALU_CYCLE_1)
	v_cmp_ne_u64_e32 vcc_lo, 0, v[6:7]
                                        ; implicit-def: $vgpr6_vgpr7
	s_and_saveexec_b32 s2, vcc_lo
	s_xor_b32 s39, exec_lo, s2
	s_cbranch_execnz .LBB14_13
; %bb.11:                               ;   in Loop: Header=BB14_10 Depth=2
	s_and_not1_saveexec_b32 s2, s39
	s_cbranch_execnz .LBB14_14
.LBB14_12:                              ;   in Loop: Header=BB14_10 Depth=2
	s_or_b32 exec_lo, exec_lo, s2
	s_and_saveexec_b32 s29, s1
	s_cbranch_execz .LBB14_9
	s_branch .LBB14_15
.LBB14_13:                              ;   in Loop: Header=BB14_10 Depth=2
	s_mov_b32 s29, s28
	v_dual_mov_b32 v17, v1 :: v_dual_ashrrev_i32 v6, 31, v9
	s_add_nc_u64 s[30:31], s[16:17], s[28:29]
	v_dual_mov_b32 v21, v1 :: v_dual_mov_b32 v25, v1
	s_xor_b64 s[30:31], s[30:31], s[28:29]
	s_delay_alu instid0(VALU_DEP_2) | instskip(SKIP_3) | instid1(VALU_DEP_1)
	v_mov_b32_e32 v7, v6
	s_cvt_f32_u32 s2, s30
	s_cvt_f32_u32 s29, s31
	s_sub_nc_u64 s[42:43], 0, s[30:31]
	v_add_nc_u64_e32 v[8:9], v[8:9], v[6:7]
	s_delay_alu instid0(SALU_CYCLE_1) | instskip(NEXT) | instid1(SALU_CYCLE_3)
	s_fmamk_f32 s2, s29, 0x4f800000, s2
	v_s_rcp_f32 s2, s2
	s_delay_alu instid0(VALU_DEP_1) | instskip(NEXT) | instid1(VALU_DEP_2)
	v_xor_b32_e32 v16, v8, v6
	v_xor_b32_e32 v20, v9, v6
	;; [unrolled: 1-line block ×3, first 2 shown]
	s_delay_alu instid0(TRANS32_DEP_1) | instskip(NEXT) | instid1(SALU_CYCLE_3)
	s_mul_f32 s2, s2, 0x5f7ffffc
	s_mul_f32 s29, s2, 0x2f800000
	s_delay_alu instid0(SALU_CYCLE_3) | instskip(NEXT) | instid1(SALU_CYCLE_3)
	s_trunc_f32 s29, s29
	s_fmamk_f32 s2, s29, 0xcf800000, s2
	s_cvt_u32_f32 s41, s29
	s_delay_alu instid0(SALU_CYCLE_2) | instskip(NEXT) | instid1(SALU_CYCLE_3)
	s_cvt_u32_f32 s40, s2
	s_mul_u64 s[44:45], s[42:43], s[40:41]
	s_delay_alu instid0(SALU_CYCLE_1)
	s_mul_hi_u32 s47, s40, s45
	s_mul_i32 s46, s40, s45
	s_mul_hi_u32 s2, s40, s44
	s_mul_i32 s48, s41, s44
	s_add_nc_u64 s[46:47], s[2:3], s[46:47]
	s_mul_hi_u32 s29, s41, s44
	s_mul_hi_u32 s49, s41, s45
	s_add_co_u32 s2, s46, s48
	s_add_co_ci_u32 s2, s47, s29
	s_mul_i32 s44, s41, s45
	s_add_co_ci_u32 s45, s49, 0
	s_delay_alu instid0(SALU_CYCLE_1) | instskip(NEXT) | instid1(SALU_CYCLE_1)
	s_add_nc_u64 s[44:45], s[2:3], s[44:45]
	s_add_co_u32 s40, s40, s44
	s_cselect_b32 s2, -1, 0
	s_delay_alu instid0(SALU_CYCLE_1) | instskip(SKIP_1) | instid1(SALU_CYCLE_1)
	s_cmp_lg_u32 s2, 0
	s_add_co_ci_u32 s41, s41, s45
	s_mul_u64 s[42:43], s[42:43], s[40:41]
	s_delay_alu instid0(SALU_CYCLE_1)
	s_mul_hi_u32 s45, s40, s43
	s_mul_i32 s44, s40, s43
	s_mul_hi_u32 s2, s40, s42
	s_mul_i32 s46, s41, s42
	s_add_nc_u64 s[44:45], s[2:3], s[44:45]
	s_mul_hi_u32 s29, s41, s42
	s_mul_hi_u32 s47, s41, s43
	s_add_co_u32 s2, s44, s46
	s_add_co_ci_u32 s2, s45, s29
	s_mul_i32 s42, s41, s43
	s_add_co_ci_u32 s43, s47, 0
	s_delay_alu instid0(SALU_CYCLE_1) | instskip(NEXT) | instid1(SALU_CYCLE_1)
	s_add_nc_u64 s[42:43], s[2:3], s[42:43]
	s_add_co_u32 s40, s40, s42
	s_cselect_b32 s2, -1, 0
	v_mul_hi_u32 v24, v16, s40
	s_cmp_lg_u32 s2, 0
	s_add_co_ci_u32 s2, s41, s43
	s_and_b64 s[42:43], s[40:41], s[24:25]
	v_mul_u64_e32 v[18:19], s[2:3], v[16:17]
	v_mul_u64_e32 v[8:9], s[42:43], v[20:21]
	;; [unrolled: 1-line block ×3, first 2 shown]
	s_delay_alu instid0(VALU_DEP_3) | instskip(NEXT) | instid1(VALU_DEP_1)
	v_add_nc_u64_e32 v[18:19], v[24:25], v[18:19]
	v_add_co_u32 v7, vcc_lo, v18, v8
	s_delay_alu instid0(VALU_DEP_2) | instskip(NEXT) | instid1(VALU_DEP_4)
	v_add_co_ci_u32_e32 v24, vcc_lo, v19, v9, vcc_lo
	v_add_co_ci_u32_e32 v23, vcc_lo, 0, v23, vcc_lo
	s_delay_alu instid0(VALU_DEP_1) | instskip(NEXT) | instid1(VALU_DEP_1)
	v_add_nc_u64_e32 v[8:9], v[24:25], v[22:23]
	v_mul_u64_e32 v[18:19], s[30:31], v[8:9]
	s_delay_alu instid0(VALU_DEP_1) | instskip(NEXT) | instid1(VALU_DEP_2)
	v_sub_nc_u32_e32 v7, v20, v19
	v_sub_co_u32 v15, vcc_lo, v16, v18
	s_delay_alu instid0(VALU_DEP_1) | instskip(NEXT) | instid1(VALU_DEP_3)
	v_sub_co_ci_u32_e64 v20, null, v20, v19, vcc_lo
	v_subrev_co_ci_u32_e64 v7, null, s31, v7, vcc_lo
	s_delay_alu instid0(VALU_DEP_3) | instskip(SKIP_1) | instid1(VALU_DEP_3)
	v_sub_co_u32 v16, s2, v15, s30
	v_add_nc_u64_e32 v[18:19], 1, v[8:9]
	v_subrev_co_ci_u32_e64 v7, null, 0, v7, s2
	s_delay_alu instid0(VALU_DEP_3) | instskip(SKIP_1) | instid1(VALU_DEP_3)
	v_cmp_le_u32_e32 vcc_lo, s30, v16
	v_cndmask_b32_e64 v16, 0, -1, vcc_lo
	v_cmp_le_u32_e32 vcc_lo, s31, v7
	v_cndmask_b32_e64 v17, 0, -1, vcc_lo
	;; [unrolled: 2-line block ×4, first 2 shown]
	v_cmp_eq_u32_e32 vcc_lo, s31, v7
	v_cndmask_b32_e32 v7, v17, v16, vcc_lo
	v_cmp_eq_u32_e32 vcc_lo, s31, v20
	v_add_nc_u64_e32 v[16:17], 2, v[8:9]
	v_cndmask_b32_e32 v15, v21, v15, vcc_lo
	s_delay_alu instid0(VALU_DEP_4) | instskip(NEXT) | instid1(VALU_DEP_2)
	v_cmp_ne_u32_e32 vcc_lo, 0, v7
	v_cmp_ne_u32_e64 s2, 0, v15
	s_delay_alu instid0(VALU_DEP_4) | instskip(NEXT) | instid1(VALU_DEP_1)
	v_dual_cndmask_b32 v7, v19, v17, vcc_lo :: v_dual_cndmask_b32 v15, v18, v16, vcc_lo
	v_cndmask_b32_e64 v8, v8, v15, s2
	s_delay_alu instid0(VALU_DEP_2) | instskip(NEXT) | instid1(VALU_DEP_2)
	v_dual_cndmask_b32 v9, v9, v7, s2 :: v_dual_mov_b32 v7, v6
	v_xor_b32_e32 v8, v8, v6
	s_delay_alu instid0(VALU_DEP_2) | instskip(NEXT) | instid1(VALU_DEP_1)
	v_xor_b32_e32 v9, v9, v6
	v_sub_nc_u64_e32 v[6:7], v[8:9], v[6:7]
                                        ; implicit-def: $vgpr8_vgpr9
	s_and_not1_saveexec_b32 s2, s39
	s_cbranch_execz .LBB14_12
.LBB14_14:                              ;   in Loop: Header=BB14_10 Depth=2
	v_cvt_f32_u32_e32 v6, s16
	s_sub_co_i32 s29, 0, s16
	s_delay_alu instid0(VALU_DEP_1) | instskip(SKIP_1) | instid1(TRANS32_DEP_1)
	v_rcp_iflag_f32_e32 v6, v6
	v_nop
	v_mul_f32_e32 v6, 0x4f7ffffe, v6
	s_delay_alu instid0(VALU_DEP_1) | instskip(NEXT) | instid1(VALU_DEP_1)
	v_cvt_u32_f32_e32 v6, v6
	v_mul_lo_u32 v7, s29, v6
	s_delay_alu instid0(VALU_DEP_1) | instskip(NEXT) | instid1(VALU_DEP_1)
	v_mul_hi_u32 v7, v6, v7
	v_add_nc_u32_e32 v6, v6, v7
	s_delay_alu instid0(VALU_DEP_1) | instskip(NEXT) | instid1(VALU_DEP_1)
	v_mul_hi_u32 v6, v8, v6
	v_mul_lo_u32 v7, v6, s16
	s_delay_alu instid0(VALU_DEP_1) | instskip(NEXT) | instid1(VALU_DEP_1)
	v_dual_sub_nc_u32 v7, v8, v7 :: v_dual_add_nc_u32 v8, 1, v6
	v_subrev_nc_u32_e32 v9, s16, v7
	v_cmp_le_u32_e32 vcc_lo, s16, v7
	s_delay_alu instid0(VALU_DEP_2) | instskip(NEXT) | instid1(VALU_DEP_1)
	v_dual_cndmask_b32 v7, v7, v9 :: v_dual_cndmask_b32 v6, v6, v8
	v_cmp_le_u32_e32 vcc_lo, s16, v7
	s_delay_alu instid0(VALU_DEP_2) | instskip(NEXT) | instid1(VALU_DEP_1)
	v_add_nc_u32_e32 v8, 1, v6
	v_cndmask_b32_e32 v6, v6, v8, vcc_lo
	s_or_b32 exec_lo, exec_lo, s2
	s_and_saveexec_b32 s29, s1
	s_cbranch_execz .LBB14_9
.LBB14_15:                              ;   in Loop: Header=BB14_10 Depth=2
	v_lshl_add_u64 v[8:9], v[0:1], 2, v[2:3]
	v_mul_lo_u32 v15, v0, s5
	s_mov_b32 s30, 0
	s_mov_b32 s31, 0
	v_mov_b32_e32 v17, v1
	global_load_b32 v7, v[8:9], off
	s_wait_xcnt 0x0
	v_mul_u64_e32 v[8:9], s[20:21], v[0:1]
	v_sub_nc_u32_e32 v8, 0, v15
	s_delay_alu instid0(VALU_DEP_1) | instskip(NEXT) | instid1(VALU_DEP_3)
	v_max_i32_e32 v16, v15, v8
	v_mul_lo_u32 v8, v9, s35
	s_delay_alu instid0(VALU_DEP_1) | instskip(NEXT) | instid1(VALU_DEP_3)
	v_sub_nc_u32_e32 v8, v0, v8
	v_mul_u64_e32 v[18:19], s[20:21], v[16:17]
	s_delay_alu instid0(VALU_DEP_2) | instskip(SKIP_1) | instid1(VALU_DEP_2)
	v_subrev_nc_u32_e32 v20, s35, v8
	v_cmp_le_u32_e32 vcc_lo, s35, v8
	v_dual_cndmask_b32 v8, v8, v20 :: v_dual_add_nc_u32 v17, 1, v9
	s_delay_alu instid0(VALU_DEP_4) | instskip(NEXT) | instid1(VALU_DEP_2)
	v_mul_lo_u32 v18, v19, s35
	v_cndmask_b32_e32 v9, v9, v17, vcc_lo
	s_delay_alu instid0(VALU_DEP_3) | instskip(NEXT) | instid1(VALU_DEP_2)
	v_cmp_le_u32_e32 vcc_lo, s35, v8
	v_dual_sub_nc_u32 v16, v16, v18 :: v_dual_add_nc_u32 v17, 1, v9
	s_delay_alu instid0(VALU_DEP_1) | instskip(NEXT) | instid1(VALU_DEP_2)
	v_dual_add_nc_u32 v18, 1, v19 :: v_dual_cndmask_b32 v8, v9, v17, vcc_lo
	v_subrev_nc_u32_e32 v9, s35, v16
	v_cmp_le_u32_e32 vcc_lo, s35, v16
	s_delay_alu instid0(VALU_DEP_3) | instskip(NEXT) | instid1(VALU_DEP_3)
	v_dual_cndmask_b32 v17, v19, v18, vcc_lo :: v_dual_ashrrev_i32 v15, 31, v15
	v_dual_cndmask_b32 v9, v16, v9, vcc_lo :: v_dual_bitop2_b32 v8, s17, v8 bitop3:0x14
	s_delay_alu instid0(VALU_DEP_2) | instskip(NEXT) | instid1(VALU_DEP_2)
	v_dual_add_nc_u32 v16, 1, v17 :: v_dual_bitop2_b32 v15, s17, v15 bitop3:0x14
	v_cmp_le_u32_e32 vcc_lo, s35, v9
	s_delay_alu instid0(VALU_DEP_3) | instskip(NEXT) | instid1(VALU_DEP_3)
	v_subrev_nc_u32_e32 v8, s17, v8
	v_cndmask_b32_e32 v9, v17, v16, vcc_lo
	s_delay_alu instid0(VALU_DEP_2) | instskip(NEXT) | instid1(VALU_DEP_2)
	v_mul_lo_u32 v16, v8, s5
	v_xor_b32_e32 v9, v9, v15
	s_delay_alu instid0(VALU_DEP_1) | instskip(NEXT) | instid1(VALU_DEP_1)
	v_sub_nc_u32_e32 v8, v9, v15
	v_add_nc_u32_e32 v8, v8, v16
	s_delay_alu instid0(VALU_DEP_1) | instskip(NEXT) | instid1(VALU_DEP_1)
	v_dual_sub_nc_u32 v17, v6, v8 :: v_dual_add_nc_u32 v6, v15, v6
	v_dual_add_nc_u32 v18, 1, v17 :: v_dual_sub_nc_u32 v6, v6, v16
	s_delay_alu instid0(VALU_DEP_1) | instskip(NEXT) | instid1(VALU_DEP_2)
	v_cvt_f32_i32_e32 v18, v18
	v_dual_sub_nc_u32 v6, v6, v9 :: v_dual_ashrrev_i32 v9, 31, v8
	s_wait_loadcnt 0x0
	s_delay_alu instid0(VALU_DEP_2) | instskip(SKIP_1) | instid1(VALU_DEP_2)
	v_div_scale_f32 v19, null, v18, v18, v7
	v_div_scale_f32 v22, vcc_lo, v7, v18, v7
	v_rcp_f32_e32 v20, v19
	v_nop
	s_delay_alu instid0(TRANS32_DEP_1) | instskip(NEXT) | instid1(VALU_DEP_1)
	v_fma_f32 v21, -v19, v20, 1.0
	v_fmac_f32_e32 v20, v21, v20
	s_delay_alu instid0(VALU_DEP_1) | instskip(NEXT) | instid1(VALU_DEP_1)
	v_mul_f32_e32 v21, v22, v20
	v_fma_f32 v23, -v19, v21, v22
	s_delay_alu instid0(VALU_DEP_1) | instskip(NEXT) | instid1(VALU_DEP_1)
	v_fmac_f32_e32 v21, v23, v20
	v_fma_f32 v19, -v19, v21, v22
	s_delay_alu instid0(VALU_DEP_1) | instskip(NEXT) | instid1(VALU_DEP_1)
	v_div_fmas_f32 v19, v19, v20, v21
	v_div_fixup_f32 v7, v19, v18, v7
	s_delay_alu instid0(VALU_DEP_1) | instskip(SKIP_1) | instid1(VALU_DEP_2)
	v_div_scale_f32 v18, null, v14, v14, v7
	v_div_scale_f32 v21, vcc_lo, v7, v14, v7
	v_rcp_f32_e32 v19, v18
	v_nop
	s_delay_alu instid0(TRANS32_DEP_1) | instskip(NEXT) | instid1(VALU_DEP_1)
	v_fma_f32 v20, -v18, v19, 1.0
	v_fmac_f32_e32 v19, v20, v19
	s_delay_alu instid0(VALU_DEP_1) | instskip(NEXT) | instid1(VALU_DEP_1)
	v_mul_f32_e32 v20, v21, v19
	v_fma_f32 v22, -v18, v20, v21
	s_delay_alu instid0(VALU_DEP_1) | instskip(NEXT) | instid1(VALU_DEP_1)
	v_fmac_f32_e32 v20, v22, v19
	v_fma_f32 v15, -v18, v20, v21
	s_delay_alu instid0(VALU_DEP_1) | instskip(SKIP_2) | instid1(VALU_DEP_3)
	v_div_fmas_f32 v16, v15, v19, v20
	v_add_nc_u32_e32 v15, 1, v6
	v_cmp_gt_u32_e32 vcc_lo, 0x7fffffff, v17
	v_div_fixup_f32 v16, v16, v14, v7
	v_lshl_add_u64 v[6:7], v[8:9], 2, v[4:5]
	s_branch .LBB14_17
.LBB14_16:                              ;   in Loop: Header=BB14_17 Depth=3
	s_or_b32 exec_lo, exec_lo, s39
	v_cmp_eq_u32_e64 s2, s31, v13
	v_add_nc_u64_e32 v[6:7], s[22:23], v[6:7]
	s_add_co_i32 s31, s31, 1
	s_or_b32 s30, s2, s30
	s_delay_alu instid0(SALU_CYCLE_1)
	s_and_not1_b32 exec_lo, exec_lo, s30
	s_cbranch_execz .LBB14_9
.LBB14_17:                              ;   Parent Loop BB14_3 Depth=1
                                        ;     Parent Loop BB14_10 Depth=2
                                        ; =>    This Loop Header: Depth=3
                                        ;         Child Loop BB14_19 Depth 4
	s_and_saveexec_b32 s39, vcc_lo
	s_cbranch_execz .LBB14_16
; %bb.18:                               ;   in Loop: Header=BB14_17 Depth=3
	s_delay_alu instid0(VALU_DEP_1)
	v_mov_b64_e32 v[8:9], v[6:7]
	v_mov_b32_e32 v17, v15
	s_mov_b32 s40, 0
.LBB14_19:                              ;   Parent Loop BB14_3 Depth=1
                                        ;     Parent Loop BB14_10 Depth=2
                                        ;       Parent Loop BB14_17 Depth=3
                                        ; =>      This Inner Loop Header: Depth=4
	global_atomic_add_f32 v[8:9], v16, off scope:SCOPE_DEV
	v_add_nc_u32_e32 v17, -1, v17
	s_wait_xcnt 0x0
	v_add_nc_u64_e32 v[8:9], 4, v[8:9]
	s_delay_alu instid0(VALU_DEP_2) | instskip(SKIP_1) | instid1(SALU_CYCLE_1)
	v_cmp_eq_u32_e64 s2, 0, v17
	s_or_b32 s40, s2, s40
	s_and_not1_b32 exec_lo, exec_lo, s40
	s_cbranch_execnz .LBB14_19
	s_branch .LBB14_16
.LBB14_20:
	s_endpgm
	.section	.rodata,"a",@progbits
	.p2align	6, 0x0
	.amdhsa_kernel _ZN2at6native12_GLOBAL__N_133atomic_adaptive_average_gradinputIfEEvPT_PKS3_iiii
		.amdhsa_group_segment_fixed_size 0
		.amdhsa_private_segment_fixed_size 0
		.amdhsa_kernarg_size 288
		.amdhsa_user_sgpr_count 2
		.amdhsa_user_sgpr_dispatch_ptr 0
		.amdhsa_user_sgpr_queue_ptr 0
		.amdhsa_user_sgpr_kernarg_segment_ptr 1
		.amdhsa_user_sgpr_dispatch_id 0
		.amdhsa_user_sgpr_kernarg_preload_length 0
		.amdhsa_user_sgpr_kernarg_preload_offset 0
		.amdhsa_user_sgpr_private_segment_size 0
		.amdhsa_wavefront_size32 1
		.amdhsa_uses_dynamic_stack 0
		.amdhsa_enable_private_segment 0
		.amdhsa_system_sgpr_workgroup_id_x 1
		.amdhsa_system_sgpr_workgroup_id_y 1
		.amdhsa_system_sgpr_workgroup_id_z 0
		.amdhsa_system_sgpr_workgroup_info 0
		.amdhsa_system_vgpr_workitem_id 1
		.amdhsa_next_free_vgpr 26
		.amdhsa_next_free_sgpr 50
		.amdhsa_named_barrier_count 0
		.amdhsa_reserve_vcc 1
		.amdhsa_float_round_mode_32 0
		.amdhsa_float_round_mode_16_64 0
		.amdhsa_float_denorm_mode_32 3
		.amdhsa_float_denorm_mode_16_64 3
		.amdhsa_fp16_overflow 0
		.amdhsa_memory_ordered 1
		.amdhsa_forward_progress 1
		.amdhsa_inst_pref_size 24
		.amdhsa_round_robin_scheduling 0
		.amdhsa_exception_fp_ieee_invalid_op 0
		.amdhsa_exception_fp_denorm_src 0
		.amdhsa_exception_fp_ieee_div_zero 0
		.amdhsa_exception_fp_ieee_overflow 0
		.amdhsa_exception_fp_ieee_underflow 0
		.amdhsa_exception_fp_ieee_inexact 0
		.amdhsa_exception_int_div_zero 0
	.end_amdhsa_kernel
	.section	.text._ZN2at6native12_GLOBAL__N_133atomic_adaptive_average_gradinputIfEEvPT_PKS3_iiii,"axG",@progbits,_ZN2at6native12_GLOBAL__N_133atomic_adaptive_average_gradinputIfEEvPT_PKS3_iiii,comdat
.Lfunc_end14:
	.size	_ZN2at6native12_GLOBAL__N_133atomic_adaptive_average_gradinputIfEEvPT_PKS3_iiii, .Lfunc_end14-_ZN2at6native12_GLOBAL__N_133atomic_adaptive_average_gradinputIfEEvPT_PKS3_iiii
                                        ; -- End function
	.set _ZN2at6native12_GLOBAL__N_133atomic_adaptive_average_gradinputIfEEvPT_PKS3_iiii.num_vgpr, 26
	.set _ZN2at6native12_GLOBAL__N_133atomic_adaptive_average_gradinputIfEEvPT_PKS3_iiii.num_agpr, 0
	.set _ZN2at6native12_GLOBAL__N_133atomic_adaptive_average_gradinputIfEEvPT_PKS3_iiii.numbered_sgpr, 50
	.set _ZN2at6native12_GLOBAL__N_133atomic_adaptive_average_gradinputIfEEvPT_PKS3_iiii.num_named_barrier, 0
	.set _ZN2at6native12_GLOBAL__N_133atomic_adaptive_average_gradinputIfEEvPT_PKS3_iiii.private_seg_size, 0
	.set _ZN2at6native12_GLOBAL__N_133atomic_adaptive_average_gradinputIfEEvPT_PKS3_iiii.uses_vcc, 1
	.set _ZN2at6native12_GLOBAL__N_133atomic_adaptive_average_gradinputIfEEvPT_PKS3_iiii.uses_flat_scratch, 0
	.set _ZN2at6native12_GLOBAL__N_133atomic_adaptive_average_gradinputIfEEvPT_PKS3_iiii.has_dyn_sized_stack, 0
	.set _ZN2at6native12_GLOBAL__N_133atomic_adaptive_average_gradinputIfEEvPT_PKS3_iiii.has_recursion, 0
	.set _ZN2at6native12_GLOBAL__N_133atomic_adaptive_average_gradinputIfEEvPT_PKS3_iiii.has_indirect_call, 0
	.section	.AMDGPU.csdata,"",@progbits
; Kernel info:
; codeLenInByte = 2988
; TotalNumSgprs: 52
; NumVgprs: 26
; ScratchSize: 0
; MemoryBound: 0
; FloatMode: 240
; IeeeMode: 1
; LDSByteSize: 0 bytes/workgroup (compile time only)
; SGPRBlocks: 0
; VGPRBlocks: 1
; NumSGPRsForWavesPerEU: 52
; NumVGPRsForWavesPerEU: 26
; NamedBarCnt: 0
; Occupancy: 16
; WaveLimiterHint : 0
; COMPUTE_PGM_RSRC2:SCRATCH_EN: 0
; COMPUTE_PGM_RSRC2:USER_SGPR: 2
; COMPUTE_PGM_RSRC2:TRAP_HANDLER: 0
; COMPUTE_PGM_RSRC2:TGID_X_EN: 1
; COMPUTE_PGM_RSRC2:TGID_Y_EN: 1
; COMPUTE_PGM_RSRC2:TGID_Z_EN: 0
; COMPUTE_PGM_RSRC2:TIDIG_COMP_CNT: 1
	.section	.text._ZN2at6native12_GLOBAL__N_126adaptive_average_gradinputIfEEvPT_PKS3_iiii,"axG",@progbits,_ZN2at6native12_GLOBAL__N_126adaptive_average_gradinputIfEEvPT_PKS3_iiii,comdat
	.globl	_ZN2at6native12_GLOBAL__N_126adaptive_average_gradinputIfEEvPT_PKS3_iiii ; -- Begin function _ZN2at6native12_GLOBAL__N_126adaptive_average_gradinputIfEEvPT_PKS3_iiii
	.p2align	8
	.type	_ZN2at6native12_GLOBAL__N_126adaptive_average_gradinputIfEEvPT_PKS3_iiii,@function
_ZN2at6native12_GLOBAL__N_126adaptive_average_gradinputIfEEvPT_PKS3_iiii: ; @_ZN2at6native12_GLOBAL__N_126adaptive_average_gradinputIfEEvPT_PKS3_iiii
; %bb.0:
	s_clause 0x1
	s_load_b32 s8, s[0:1], 0x2c
	s_load_b128 s[4:7], s[0:1], 0x10
	s_bfe_u32 s2, ttmp6, 0x40010
	s_bfe_u32 s3, ttmp6, 0x40004
	s_add_co_i32 s2, s2, 1
	s_getreg_b32 s10, hwreg(HW_REG_IB_STS2, 6, 4)
	s_mul_i32 s2, ttmp7, s2
	v_bfe_u32 v1, v0, 10, 10
	s_add_co_i32 s3, s3, s2
	s_mov_b32 s9, 0
	s_wait_kmcnt 0x0
	s_lshr_b32 s14, s8, 16
	s_cmp_eq_u32 s10, 0
	s_cselect_b32 s2, ttmp7, s3
	s_delay_alu instid0(SALU_CYCLE_1) | instskip(SKIP_1) | instid1(VALU_DEP_1)
	v_mad_u32 v12, s2, s14, v1
	s_mov_b32 s2, exec_lo
	v_cmpx_gt_i32_e64 s4, v12
	s_cbranch_execz .LBB15_28
; %bb.1:
	s_add_nc_u64 s[12:13], s[0:1], 32
	s_load_b128 s[0:3], s[0:1], 0x0
	s_bfe_u32 s11, ttmp6, 0x4000c
	s_load_b32 s40, s[12:13], 0x4
	s_add_co_i32 s11, s11, 1
	s_wait_xcnt 0x0
	s_and_b32 s12, ttmp6, 15
	s_mul_i32 s11, ttmp9, s11
	v_and_b32_e32 v13, 0x3ff, v0
	s_add_co_i32 s12, s12, s11
	s_cmp_eq_u32 s10, 0
	s_mov_b32 s16, s4
	s_cselect_b32 s10, ttmp9, s12
	s_abs_i32 s33, s4
	s_mul_i32 s12, s4, s10
	s_cvt_f32_u32 s15, s33
	s_mul_i32 s12, s12, s5
	s_abs_i32 s41, s5
	s_ashr_i32 s13, s12, 31
	s_mul_i32 s11, s6, s10
	s_lshl_b64 s[12:13], s[12:13], 2
	v_rcp_iflag_f32_e32 v0, s15
	s_wait_kmcnt 0x0
	s_add_nc_u64 s[12:13], s[0:1], s[12:13]
	s_cvt_f32_u32 s0, s41
	s_mul_i32 s10, s11, s7
	s_abs_i32 s43, s6
	s_ashr_i32 s11, s10, 31
	v_rcp_iflag_f32_e32 v1, s0
	s_lshl_b64 s[10:11], s[10:11], 2
	v_readfirstlane_b32 s1, v0
	s_add_nc_u64 s[10:11], s[2:3], s[10:11]
	s_cvt_f32_u32 s3, s43
	s_abs_i32 s44, s7
	s_and_b32 s42, s8, 0xffff
	v_readfirstlane_b32 s2, v1
	s_mul_f32 s1, s1, 0x4f7ffffe
	v_rcp_iflag_f32_e32 v0, s3
	s_cvt_f32_u32 s8, s44
	s_sub_co_i32 s3, 0, s33
	s_cvt_u32_f32 s1, s1
	s_mul_f32 s2, s2, 0x4f7ffffe
	v_rcp_iflag_f32_e32 v1, s8
	s_sub_co_i32 s22, 0, s41
	v_nop
	v_readfirstlane_b32 s8, v0
	s_mul_i32 s3, s3, s1
	s_cvt_u32_f32 s2, s2
	v_cvt_f32_u32_e32 v0, s16
	s_mul_hi_u32 s3, s1, s3
	v_cmp_gt_i32_e64 s0, s5, v13
	s_mul_i32 s23, s22, s2
	s_add_co_i32 s22, s1, s3
	s_mul_f32 s3, s8, 0x4f7ffffe
	v_readfirstlane_b32 s8, v1
	v_rcp_iflag_f32_e32 v0, v0
	s_mul_hi_u32 s1, s2, s23
	s_ashr_i32 s17, s4, 31
	s_add_co_i32 s24, s2, s1
	s_cvt_u32_f32 s1, s3
	s_mul_f32 s3, s8, 0x4f7ffffe
	s_sub_co_i32 s2, 0, s43
	v_nop
	v_dual_mul_f32 v1, 0x4f7ffffe, v0 :: v_dual_mov_b32 v0, 0
	s_cvt_u32_f32 s3, s3
	s_mul_i32 s2, s2, s1
	s_sub_co_i32 s8, 0, s44
	s_mul_hi_u32 s2, s1, s2
	s_mul_i32 s8, s8, s3
	v_cvt_u32_f32_e32 v14, v1
	s_add_co_i32 s26, s1, s2
	s_mul_hi_u32 s1, s3, s8
	s_mul_i32 s40, s40, s14
	s_ashr_i32 s15, s6, 31
	s_mov_b32 s14, s6
	s_ashr_i32 s19, s7, 31
	s_mov_b32 s18, s7
	;; [unrolled: 2-line block ×3, first 2 shown]
	s_mov_b32 s23, s9
	s_mov_b32 s25, s9
	s_mov_b32 s27, s9
	s_add_co_i32 s28, s3, s1
	s_mov_b32 s29, s9
	s_mov_b64 s[30:31], 0xffffffff
	s_sub_co_i32 s45, 0, s7
	s_ashr_i32 s34, s17, 31
	s_mov_b32 s46, 0
	s_branch .LBB15_3
.LBB15_2:                               ;   in Loop: Header=BB15_3 Depth=1
	s_or_b32 exec_lo, exec_lo, s35
	v_add_nc_u32_e32 v12, s40, v12
	s_delay_alu instid0(VALU_DEP_1) | instskip(SKIP_1) | instid1(SALU_CYCLE_1)
	v_cmp_le_i32_e32 vcc_lo, s4, v12
	s_or_b32 s46, vcc_lo, s46
	s_and_not1_b32 exec_lo, exec_lo, s46
	s_cbranch_execz .LBB15_28
.LBB15_3:                               ; =>This Loop Header: Depth=1
                                        ;     Child Loop BB15_10 Depth 2
                                        ;       Child Loop BB15_17 Depth 3
                                        ;         Child Loop BB15_24 Depth 4
	v_add_nc_u32_e32 v1, 1, v12
                                        ; implicit-def: $vgpr4_vgpr5
	s_mov_b32 s1, exec_lo
	s_delay_alu instid0(VALU_DEP_1) | instskip(NEXT) | instid1(VALU_DEP_1)
	v_mad_nc_i64_i32 v[2:3], v1, s14, -1
	v_or_b32_e32 v1, s17, v3
	s_delay_alu instid0(VALU_DEP_1)
	v_cmpx_ne_u64_e32 0, v[0:1]
	s_xor_b32 s36, exec_lo, s1
	s_cbranch_execnz .LBB15_6
; %bb.4:                                ;   in Loop: Header=BB15_3 Depth=1
	s_and_not1_saveexec_b32 s1, s36
	s_cbranch_execnz .LBB15_7
.LBB15_5:                               ;   in Loop: Header=BB15_3 Depth=1
	s_or_b32 exec_lo, exec_lo, s1
	s_and_saveexec_b32 s35, s0
	s_cbranch_execz .LBB15_2
	s_branch .LBB15_8
.LBB15_6:                               ;   in Loop: Header=BB15_3 Depth=1
	s_mov_b32 s35, s34
	v_dual_mov_b32 v7, v0 :: v_dual_ashrrev_i32 v4, 31, v3
	s_add_nc_u64 s[2:3], s[16:17], s[34:35]
	s_delay_alu instid0(SALU_CYCLE_1) | instskip(NEXT) | instid1(VALU_DEP_1)
	s_xor_b64 s[2:3], s[2:3], s[34:35]
	v_mov_b32_e32 v5, v4
	s_cvt_f32_u32 s1, s2
	s_cvt_f32_u32 s8, s3
	s_sub_nc_u64 s[48:49], 0, s[2:3]
	s_delay_alu instid0(VALU_DEP_1) | instskip(NEXT) | instid1(SALU_CYCLE_1)
	v_add_nc_u64_e32 v[2:3], v[2:3], v[4:5]
	s_fmamk_f32 s1, s8, 0x4f800000, s1
	v_mov_b32_e32 v11, v0
	s_delay_alu instid0(SALU_CYCLE_2) | instskip(NEXT) | instid1(VALU_DEP_2)
	v_s_rcp_f32 s1, s1
	v_xor_b32_e32 v6, v2, v4
	s_delay_alu instid0(VALU_DEP_3) | instskip(NEXT) | instid1(TRANS32_DEP_1)
	v_dual_mov_b32 v19, v0 :: v_dual_bitop2_b32 v10, v3, v4 bitop3:0x14
	s_mul_f32 s1, s1, 0x5f7ffffc
	s_delay_alu instid0(SALU_CYCLE_3) | instskip(NEXT) | instid1(SALU_CYCLE_3)
	s_mul_f32 s8, s1, 0x2f800000
	s_trunc_f32 s8, s8
	s_delay_alu instid0(SALU_CYCLE_3) | instskip(SKIP_1) | instid1(SALU_CYCLE_2)
	s_fmamk_f32 s1, s8, 0xcf800000, s1
	s_cvt_u32_f32 s39, s8
	s_cvt_u32_f32 s38, s1
	s_delay_alu instid0(SALU_CYCLE_3) | instskip(NEXT) | instid1(SALU_CYCLE_1)
	s_mul_u64 s[50:51], s[48:49], s[38:39]
	s_mul_hi_u32 s53, s38, s51
	s_mul_i32 s52, s38, s51
	s_mul_hi_u32 s8, s38, s50
	s_mul_i32 s35, s39, s50
	s_add_nc_u64 s[52:53], s[8:9], s[52:53]
	s_mul_hi_u32 s1, s39, s50
	s_mul_hi_u32 s37, s39, s51
	s_add_co_u32 s8, s52, s35
	s_add_co_ci_u32 s8, s53, s1
	s_mul_i32 s50, s39, s51
	s_add_co_ci_u32 s51, s37, 0
	s_delay_alu instid0(SALU_CYCLE_1) | instskip(NEXT) | instid1(SALU_CYCLE_1)
	s_add_nc_u64 s[50:51], s[8:9], s[50:51]
	s_add_co_u32 s38, s38, s50
	s_cselect_b32 s1, -1, 0
	s_delay_alu instid0(SALU_CYCLE_1) | instskip(SKIP_1) | instid1(SALU_CYCLE_1)
	s_cmp_lg_u32 s1, 0
	s_add_co_ci_u32 s39, s39, s51
	s_mul_u64 s[48:49], s[48:49], s[38:39]
	s_delay_alu instid0(SALU_CYCLE_1)
	s_mul_hi_u32 s51, s38, s49
	s_mul_i32 s50, s38, s49
	s_mul_hi_u32 s8, s38, s48
	s_mul_i32 s35, s39, s48
	s_add_nc_u64 s[50:51], s[8:9], s[50:51]
	s_mul_hi_u32 s1, s39, s48
	s_mul_hi_u32 s37, s39, s49
	s_add_co_u32 s8, s50, s35
	s_add_co_ci_u32 s8, s51, s1
	s_mul_i32 s48, s39, s49
	s_add_co_ci_u32 s49, s37, 0
	s_delay_alu instid0(SALU_CYCLE_1) | instskip(NEXT) | instid1(SALU_CYCLE_1)
	s_add_nc_u64 s[48:49], s[8:9], s[48:49]
	s_add_co_u32 s38, s38, s48
	s_cselect_b32 s1, -1, 0
	v_mul_hi_u32 v18, v6, s38
	s_cmp_lg_u32 s1, 0
	s_add_co_ci_u32 s8, s39, s49
	s_and_b64 s[48:49], s[38:39], s[30:31]
	v_mul_u64_e32 v[8:9], s[8:9], v[6:7]
	v_mul_u64_e32 v[2:3], s[48:49], v[10:11]
	;; [unrolled: 1-line block ×3, first 2 shown]
	s_delay_alu instid0(VALU_DEP_3) | instskip(NEXT) | instid1(VALU_DEP_1)
	v_add_nc_u64_e32 v[8:9], v[18:19], v[8:9]
	v_add_co_u32 v1, vcc_lo, v8, v2
	s_delay_alu instid0(VALU_DEP_2) | instskip(NEXT) | instid1(VALU_DEP_4)
	v_add_co_ci_u32_e32 v18, vcc_lo, v9, v3, vcc_lo
	v_add_co_ci_u32_e32 v17, vcc_lo, 0, v17, vcc_lo
	s_delay_alu instid0(VALU_DEP_1) | instskip(NEXT) | instid1(VALU_DEP_1)
	v_add_nc_u64_e32 v[2:3], v[18:19], v[16:17]
	v_mul_u64_e32 v[8:9], s[2:3], v[2:3]
	s_delay_alu instid0(VALU_DEP_1) | instskip(NEXT) | instid1(VALU_DEP_2)
	v_sub_nc_u32_e32 v1, v10, v9
	v_sub_co_u32 v5, vcc_lo, v6, v8
	s_delay_alu instid0(VALU_DEP_1) | instskip(NEXT) | instid1(VALU_DEP_3)
	v_sub_co_ci_u32_e64 v10, null, v10, v9, vcc_lo
	v_subrev_co_ci_u32_e64 v1, null, s3, v1, vcc_lo
	s_delay_alu instid0(VALU_DEP_3) | instskip(SKIP_1) | instid1(VALU_DEP_3)
	v_sub_co_u32 v6, s1, v5, s2
	v_add_nc_u64_e32 v[8:9], 1, v[2:3]
	v_subrev_co_ci_u32_e64 v1, null, 0, v1, s1
	s_delay_alu instid0(VALU_DEP_3) | instskip(SKIP_1) | instid1(VALU_DEP_3)
	v_cmp_le_u32_e32 vcc_lo, s2, v6
	v_cndmask_b32_e64 v6, 0, -1, vcc_lo
	v_cmp_le_u32_e32 vcc_lo, s3, v1
	v_cndmask_b32_e64 v7, 0, -1, vcc_lo
	;; [unrolled: 2-line block ×4, first 2 shown]
	v_cmp_eq_u32_e32 vcc_lo, s3, v1
	v_cndmask_b32_e32 v1, v7, v6, vcc_lo
	v_cmp_eq_u32_e32 vcc_lo, s3, v10
	v_add_nc_u64_e32 v[6:7], 2, v[2:3]
	v_cndmask_b32_e32 v5, v11, v5, vcc_lo
	s_delay_alu instid0(VALU_DEP_4) | instskip(NEXT) | instid1(VALU_DEP_3)
	v_cmp_ne_u32_e32 vcc_lo, 0, v1
	v_cndmask_b32_e32 v1, v9, v7, vcc_lo
	s_delay_alu instid0(VALU_DEP_3) | instskip(SKIP_1) | instid1(VALU_DEP_2)
	v_cmp_ne_u32_e64 s1, 0, v5
	v_dual_cndmask_b32 v5, v8, v6, vcc_lo :: v_dual_bitop2_b32 v4, s34, v4 bitop3:0x14
	v_cndmask_b32_e64 v1, v3, v1, s1
	s_delay_alu instid0(VALU_DEP_2) | instskip(NEXT) | instid1(VALU_DEP_2)
	v_dual_cndmask_b32 v2, v2, v5, s1 :: v_dual_mov_b32 v5, v4
	v_xor_b32_e32 v3, v1, v4
	s_delay_alu instid0(VALU_DEP_2) | instskip(NEXT) | instid1(VALU_DEP_1)
	v_xor_b32_e32 v2, v2, v4
	v_sub_nc_u64_e32 v[4:5], v[2:3], v[4:5]
                                        ; implicit-def: $vgpr2_vgpr3
	s_and_not1_saveexec_b32 s1, s36
	s_cbranch_execz .LBB15_5
.LBB15_7:                               ;   in Loop: Header=BB15_3 Depth=1
	s_sub_co_i32 s2, 0, s16
	s_delay_alu instid0(SALU_CYCLE_1) | instskip(NEXT) | instid1(VALU_DEP_1)
	v_mul_lo_u32 v1, s2, v14
	v_mul_hi_u32 v1, v14, v1
	s_delay_alu instid0(VALU_DEP_1) | instskip(NEXT) | instid1(VALU_DEP_1)
	v_add_nc_u32_e32 v1, v14, v1
	v_mul_hi_u32 v1, v2, v1
	s_delay_alu instid0(VALU_DEP_1) | instskip(NEXT) | instid1(VALU_DEP_1)
	v_mul_lo_u32 v3, v1, s16
	v_dual_sub_nc_u32 v2, v2, v3 :: v_dual_add_nc_u32 v3, 1, v1
	s_delay_alu instid0(VALU_DEP_1) | instskip(SKIP_1) | instid1(VALU_DEP_2)
	v_subrev_nc_u32_e32 v4, s16, v2
	v_cmp_le_u32_e32 vcc_lo, s16, v2
	v_dual_cndmask_b32 v2, v2, v4 :: v_dual_cndmask_b32 v1, v1, v3
	s_delay_alu instid0(VALU_DEP_1) | instskip(NEXT) | instid1(VALU_DEP_2)
	v_cmp_le_u32_e32 vcc_lo, s16, v2
	v_add_nc_u32_e32 v3, 1, v1
	s_delay_alu instid0(VALU_DEP_1)
	v_cndmask_b32_e32 v4, v1, v3, vcc_lo
	s_or_b32 exec_lo, exec_lo, s1
	s_and_saveexec_b32 s35, s0
	s_cbranch_execz .LBB15_2
.LBB15_8:                               ;   in Loop: Header=BB15_3 Depth=1
	v_dual_sub_nc_u32 v1, 0, v12 :: v_dual_mov_b32 v3, v0
	s_mov_b32 s47, 0
	v_ashrrev_i32_e32 v5, 31, v12
	s_delay_alu instid0(VALU_DEP_2) | instskip(NEXT) | instid1(VALU_DEP_2)
	v_dual_add_nc_u32 v16, 1, v4 :: v_dual_max_i32 v2, v12, v1
	v_dual_mov_b32 v4, v13 :: v_dual_bitop2_b32 v5, s17, v5 bitop3:0x14
	s_delay_alu instid0(VALU_DEP_2) | instskip(NEXT) | instid1(VALU_DEP_1)
	v_mul_u64_e32 v[6:7], s[22:23], v[2:3]
	v_mul_lo_u32 v1, v7, s33
	s_delay_alu instid0(VALU_DEP_1) | instskip(NEXT) | instid1(VALU_DEP_1)
	v_dual_sub_nc_u32 v1, v2, v1 :: v_dual_add_nc_u32 v2, 1, v7
	v_subrev_nc_u32_e32 v3, s33, v1
	v_cmp_le_u32_e32 vcc_lo, s33, v1
	s_delay_alu instid0(VALU_DEP_2) | instskip(NEXT) | instid1(VALU_DEP_1)
	v_dual_cndmask_b32 v2, v7, v2 :: v_dual_cndmask_b32 v1, v1, v3
	v_add_nc_u32_e32 v3, 1, v2
	s_delay_alu instid0(VALU_DEP_2) | instskip(NEXT) | instid1(VALU_DEP_2)
	v_cmp_le_u32_e32 vcc_lo, s33, v1
	v_dual_cndmask_b32 v1, v2, v3, vcc_lo :: v_dual_mov_b32 v3, v0
	s_delay_alu instid0(VALU_DEP_1) | instskip(NEXT) | instid1(VALU_DEP_1)
	v_xor_b32_e32 v1, v1, v5
	v_sub_nc_u32_e32 v1, v1, v5
	s_delay_alu instid0(VALU_DEP_1) | instskip(NEXT) | instid1(VALU_DEP_1)
	v_mul_lo_u32 v2, v1, s4
	v_sub_nc_u32_e32 v2, v12, v2
	s_delay_alu instid0(VALU_DEP_1) | instskip(NEXT) | instid1(VALU_DEP_1)
	v_mul_lo_u32 v5, v2, s6
	v_sub_nc_u32_e32 v2, 0, v5
	s_delay_alu instid0(VALU_DEP_1) | instskip(NEXT) | instid1(VALU_DEP_1)
	v_max_i32_e32 v2, v5, v2
	v_mul_u64_e32 v[6:7], s[22:23], v[2:3]
	s_delay_alu instid0(VALU_DEP_1) | instskip(NEXT) | instid1(VALU_DEP_1)
	v_mul_lo_u32 v3, v7, s33
	v_sub_nc_u32_e32 v2, v2, v3
	v_add_nc_u32_e32 v3, 1, v7
	s_delay_alu instid0(VALU_DEP_2) | instskip(NEXT) | instid1(VALU_DEP_2)
	v_cmp_le_u32_e32 vcc_lo, s33, v2
	v_cndmask_b32_e32 v3, v7, v3, vcc_lo
	v_subrev_nc_u32_e32 v6, s33, v2
	s_delay_alu instid0(VALU_DEP_1) | instskip(NEXT) | instid1(VALU_DEP_1)
	v_dual_cndmask_b32 v2, v2, v6 :: v_dual_ashrrev_i32 v5, 31, v5
	v_dual_add_nc_u32 v6, 1, v3 :: v_dual_bitop2_b32 v5, s17, v5 bitop3:0x14
	s_delay_alu instid0(VALU_DEP_2) | instskip(NEXT) | instid1(VALU_DEP_2)
	v_cmp_le_u32_e32 vcc_lo, s33, v2
	v_cndmask_b32_e32 v2, v3, v6, vcc_lo
	s_delay_alu instid0(VALU_DEP_1) | instskip(NEXT) | instid1(VALU_DEP_1)
	v_xor_b32_e32 v2, v2, v5
	v_sub_nc_u32_e32 v3, v2, v5
	v_mul_lo_u32 v2, v12, s5
	s_delay_alu instid0(VALU_DEP_2) | instskip(NEXT) | instid1(VALU_DEP_2)
	v_mad_u32 v15, v1, s6, v3
	v_ashrrev_i32_e32 v3, 31, v2
	s_delay_alu instid0(VALU_DEP_2) | instskip(NEXT) | instid1(VALU_DEP_2)
	v_mul_lo_u32 v17, s7, v15
	v_lshl_add_u64 v[2:3], v[2:3], 2, s[12:13]
	v_cmp_lt_i32_e64 s1, v15, v16
	s_branch .LBB15_10
.LBB15_9:                               ;   in Loop: Header=BB15_10 Depth=2
	s_or_b32 exec_lo, exec_lo, s48
	v_add_nc_u32_e32 v4, s42, v4
	s_delay_alu instid0(VALU_DEP_1) | instskip(SKIP_1) | instid1(SALU_CYCLE_1)
	v_cmp_le_i32_e32 vcc_lo, s5, v4
	s_or_b32 s47, vcc_lo, s47
	s_and_not1_b32 exec_lo, exec_lo, s47
	s_cbranch_execz .LBB15_2
.LBB15_10:                              ;   Parent Loop BB15_3 Depth=1
                                        ; =>  This Loop Header: Depth=2
                                        ;       Child Loop BB15_17 Depth 3
                                        ;         Child Loop BB15_24 Depth 4
	v_add_nc_u32_e32 v1, 1, v4
                                        ; implicit-def: $vgpr8_vgpr9
	s_mov_b32 s2, exec_lo
	s_delay_alu instid0(VALU_DEP_1) | instskip(NEXT) | instid1(VALU_DEP_1)
	v_mad_nc_u64_u32 v[6:7], v1, s18, -1
	v_mad_u32 v7, v1, s19, v7
	s_delay_alu instid0(VALU_DEP_1) | instskip(NEXT) | instid1(VALU_DEP_1)
	v_or_b32_e32 v1, s21, v7
	v_cmpx_ne_u64_e32 0, v[0:1]
	s_xor_b32 s3, exec_lo, s2
	s_cbranch_execnz .LBB15_13
; %bb.11:                               ;   in Loop: Header=BB15_10 Depth=2
	s_and_not1_saveexec_b32 s2, s3
	s_cbranch_execnz .LBB15_14
.LBB15_12:                              ;   in Loop: Header=BB15_10 Depth=2
	s_or_b32 exec_lo, exec_lo, s2
	v_mov_b32_e32 v5, v0
	s_and_saveexec_b32 s48, s1
	s_cbranch_execz .LBB15_9
	s_branch .LBB15_15
.LBB15_13:                              ;   in Loop: Header=BB15_10 Depth=2
	s_ashr_i32 s36, s21, 31
	v_dual_mov_b32 v11, v0 :: v_dual_ashrrev_i32 v8, 31, v7
	s_mov_b32 s37, s36
	v_mov_b32_e32 v25, v0
	s_add_nc_u64 s[38:39], s[20:21], s[36:37]
	s_delay_alu instid0(VALU_DEP_2) | instskip(SKIP_1) | instid1(SALU_CYCLE_1)
	v_mov_b32_e32 v9, v8
	s_xor_b64 s[38:39], s[38:39], s[36:37]
	s_cvt_f32_u32 s2, s38
	s_cvt_f32_u32 s8, s39
	s_sub_nc_u64 s[50:51], 0, s[38:39]
	v_add_nc_u64_e32 v[6:7], v[6:7], v[8:9]
	v_mov_b32_e32 v21, v0
	s_fmamk_f32 s2, s8, 0x4f800000, s2
	s_delay_alu instid0(SALU_CYCLE_3) | instskip(NEXT) | instid1(VALU_DEP_2)
	v_s_rcp_f32 s2, s2
	v_xor_b32_e32 v10, v6, v8
	s_delay_alu instid0(VALU_DEP_3) | instskip(NEXT) | instid1(TRANS32_DEP_1)
	v_xor_b32_e32 v20, v7, v8
	s_mul_f32 s2, s2, 0x5f7ffffc
	s_delay_alu instid0(SALU_CYCLE_3) | instskip(NEXT) | instid1(SALU_CYCLE_3)
	s_mul_f32 s8, s2, 0x2f800000
	s_trunc_f32 s8, s8
	s_delay_alu instid0(SALU_CYCLE_3) | instskip(SKIP_1) | instid1(SALU_CYCLE_2)
	s_fmamk_f32 s2, s8, 0xcf800000, s2
	s_cvt_u32_f32 s49, s8
	s_cvt_u32_f32 s48, s2
	s_delay_alu instid0(SALU_CYCLE_3) | instskip(NEXT) | instid1(SALU_CYCLE_1)
	s_mul_u64 s[52:53], s[50:51], s[48:49]
	s_mul_hi_u32 s55, s48, s53
	s_mul_i32 s54, s48, s53
	s_mul_hi_u32 s8, s48, s52
	s_mul_i32 s37, s49, s52
	s_add_nc_u64 s[54:55], s[8:9], s[54:55]
	s_mul_hi_u32 s2, s49, s52
	s_mul_hi_u32 s56, s49, s53
	s_add_co_u32 s8, s54, s37
	s_add_co_ci_u32 s8, s55, s2
	s_mul_i32 s52, s49, s53
	s_add_co_ci_u32 s53, s56, 0
	s_delay_alu instid0(SALU_CYCLE_1) | instskip(NEXT) | instid1(SALU_CYCLE_1)
	s_add_nc_u64 s[52:53], s[8:9], s[52:53]
	s_add_co_u32 s48, s48, s52
	s_cselect_b32 s2, -1, 0
	s_delay_alu instid0(SALU_CYCLE_1) | instskip(SKIP_1) | instid1(SALU_CYCLE_1)
	s_cmp_lg_u32 s2, 0
	s_add_co_ci_u32 s49, s49, s53
	s_mul_u64 s[50:51], s[50:51], s[48:49]
	s_delay_alu instid0(SALU_CYCLE_1)
	s_mul_hi_u32 s53, s48, s51
	s_mul_i32 s52, s48, s51
	s_mul_hi_u32 s8, s48, s50
	s_mul_i32 s37, s49, s50
	s_add_nc_u64 s[52:53], s[8:9], s[52:53]
	s_mul_hi_u32 s2, s49, s50
	s_mul_hi_u32 s54, s49, s51
	s_add_co_u32 s8, s52, s37
	s_add_co_ci_u32 s8, s53, s2
	s_mul_i32 s50, s49, s51
	s_add_co_ci_u32 s51, s54, 0
	s_delay_alu instid0(SALU_CYCLE_1) | instskip(NEXT) | instid1(SALU_CYCLE_1)
	s_add_nc_u64 s[50:51], s[8:9], s[50:51]
	s_add_co_u32 s2, s48, s50
	s_cselect_b32 s8, -1, 0
	v_mul_hi_u32 v24, v10, s2
	s_cmp_lg_u32 s8, 0
	s_add_co_ci_u32 s8, s49, s51
	s_and_b64 s[48:49], s[2:3], s[30:31]
	v_mul_u64_e32 v[18:19], s[8:9], v[10:11]
	v_mul_u64_e32 v[6:7], s[48:49], v[20:21]
	;; [unrolled: 1-line block ×3, first 2 shown]
	s_delay_alu instid0(VALU_DEP_3) | instskip(NEXT) | instid1(VALU_DEP_1)
	v_add_nc_u64_e32 v[18:19], v[24:25], v[18:19]
	v_add_co_u32 v1, vcc_lo, v18, v6
	s_delay_alu instid0(VALU_DEP_2) | instskip(NEXT) | instid1(VALU_DEP_4)
	v_add_co_ci_u32_e32 v24, vcc_lo, v19, v7, vcc_lo
	v_add_co_ci_u32_e32 v23, vcc_lo, 0, v23, vcc_lo
	s_delay_alu instid0(VALU_DEP_1) | instskip(NEXT) | instid1(VALU_DEP_1)
	v_add_nc_u64_e32 v[6:7], v[24:25], v[22:23]
	v_mul_u64_e32 v[18:19], s[38:39], v[6:7]
	s_delay_alu instid0(VALU_DEP_1) | instskip(NEXT) | instid1(VALU_DEP_2)
	v_sub_nc_u32_e32 v1, v20, v19
	v_sub_co_u32 v5, vcc_lo, v10, v18
	s_delay_alu instid0(VALU_DEP_1) | instskip(NEXT) | instid1(VALU_DEP_3)
	v_sub_co_ci_u32_e64 v20, null, v20, v19, vcc_lo
	v_subrev_co_ci_u32_e64 v1, null, s39, v1, vcc_lo
	s_delay_alu instid0(VALU_DEP_3) | instskip(SKIP_1) | instid1(VALU_DEP_3)
	v_sub_co_u32 v9, s2, v5, s38
	v_add_nc_u64_e32 v[18:19], 1, v[6:7]
	v_subrev_co_ci_u32_e64 v1, null, 0, v1, s2
	s_delay_alu instid0(VALU_DEP_3) | instskip(SKIP_1) | instid1(VALU_DEP_3)
	v_cmp_le_u32_e32 vcc_lo, s38, v9
	v_cndmask_b32_e64 v9, 0, -1, vcc_lo
	v_cmp_le_u32_e32 vcc_lo, s39, v1
	v_cndmask_b32_e64 v10, 0, -1, vcc_lo
	;; [unrolled: 2-line block ×4, first 2 shown]
	v_cmp_eq_u32_e32 vcc_lo, s39, v1
	v_cndmask_b32_e32 v1, v10, v9, vcc_lo
	v_cmp_eq_u32_e32 vcc_lo, s39, v20
	v_add_nc_u64_e32 v[10:11], 2, v[6:7]
	v_cndmask_b32_e32 v5, v21, v5, vcc_lo
	s_delay_alu instid0(VALU_DEP_4) | instskip(NEXT) | instid1(VALU_DEP_2)
	v_cmp_ne_u32_e32 vcc_lo, 0, v1
	v_cmp_ne_u32_e64 s2, 0, v5
	s_delay_alu instid0(VALU_DEP_4) | instskip(NEXT) | instid1(VALU_DEP_1)
	v_dual_cndmask_b32 v1, v19, v11, vcc_lo :: v_dual_cndmask_b32 v5, v18, v10, vcc_lo
	v_dual_cndmask_b32 v1, v7, v1, s2 :: v_dual_bitop2_b32 v8, s36, v8 bitop3:0x14
	s_delay_alu instid0(VALU_DEP_1) | instskip(NEXT) | instid1(VALU_DEP_2)
	v_dual_cndmask_b32 v5, v6, v5, s2 :: v_dual_mov_b32 v9, v8
	v_xor_b32_e32 v7, v1, v8
	s_delay_alu instid0(VALU_DEP_2) | instskip(NEXT) | instid1(VALU_DEP_1)
	v_xor_b32_e32 v6, v5, v8
	v_sub_nc_u64_e32 v[8:9], v[6:7], v[8:9]
                                        ; implicit-def: $vgpr6_vgpr7
	s_and_not1_saveexec_b32 s2, s3
	s_cbranch_execz .LBB15_12
.LBB15_14:                              ;   in Loop: Header=BB15_10 Depth=2
	v_cvt_f32_u32_e32 v1, s20
	s_sub_co_i32 s3, 0, s20
	s_delay_alu instid0(VALU_DEP_1) | instskip(SKIP_1) | instid1(TRANS32_DEP_1)
	v_rcp_iflag_f32_e32 v1, v1
	v_nop
	v_mul_f32_e32 v1, 0x4f7ffffe, v1
	s_delay_alu instid0(VALU_DEP_1) | instskip(NEXT) | instid1(VALU_DEP_1)
	v_cvt_u32_f32_e32 v1, v1
	v_mul_lo_u32 v5, s3, v1
	s_delay_alu instid0(VALU_DEP_1) | instskip(NEXT) | instid1(VALU_DEP_1)
	v_mul_hi_u32 v5, v1, v5
	v_add_nc_u32_e32 v1, v1, v5
	s_delay_alu instid0(VALU_DEP_1) | instskip(NEXT) | instid1(VALU_DEP_1)
	v_mul_hi_u32 v1, v6, v1
	v_mul_lo_u32 v5, v1, s20
	s_delay_alu instid0(VALU_DEP_1) | instskip(NEXT) | instid1(VALU_DEP_1)
	v_sub_nc_u32_e32 v5, v6, v5
	v_subrev_nc_u32_e32 v7, s20, v5
	v_cmp_le_u32_e32 vcc_lo, s20, v5
	s_delay_alu instid0(VALU_DEP_2) | instskip(NEXT) | instid1(VALU_DEP_1)
	v_dual_cndmask_b32 v5, v5, v7 :: v_dual_add_nc_u32 v6, 1, v1
	v_cndmask_b32_e32 v1, v1, v6, vcc_lo
	s_delay_alu instid0(VALU_DEP_2) | instskip(NEXT) | instid1(VALU_DEP_2)
	v_cmp_le_u32_e32 vcc_lo, s20, v5
	v_add_nc_u32_e32 v6, 1, v1
	s_delay_alu instid0(VALU_DEP_1)
	v_cndmask_b32_e32 v8, v1, v6, vcc_lo
	s_or_b32 exec_lo, exec_lo, s2
	v_mov_b32_e32 v5, v0
	s_and_saveexec_b32 s48, s1
	s_cbranch_execz .LBB15_9
.LBB15_15:                              ;   in Loop: Header=BB15_10 Depth=2
	v_mul_lo_u32 v1, v4, s7
	s_delay_alu instid0(VALU_DEP_2) | instskip(SKIP_2) | instid1(VALU_DEP_3)
	v_mul_u64_e32 v[10:11], s[24:25], v[4:5]
	v_mov_b32_e32 v22, v15
	s_mov_b32 s49, 0
	v_dual_mov_b32 v7, v0 :: v_dual_sub_nc_u32 v6, 0, v1
	s_delay_alu instid0(VALU_DEP_1) | instskip(NEXT) | instid1(VALU_DEP_1)
	v_max_i32_e32 v6, v1, v6
	v_mul_u64_e32 v[18:19], s[24:25], v[6:7]
	v_mul_lo_u32 v7, v11, s41
	s_delay_alu instid0(VALU_DEP_1) | instskip(NEXT) | instid1(VALU_DEP_1)
	v_sub_nc_u32_e32 v7, v4, v7
	v_cmp_le_u32_e32 vcc_lo, s41, v7
	s_delay_alu instid0(VALU_DEP_4) | instskip(NEXT) | instid1(VALU_DEP_1)
	v_mul_lo_u32 v9, v19, s41
	v_dual_add_nc_u32 v10, 1, v11 :: v_dual_sub_nc_u32 v6, v6, v9
	s_delay_alu instid0(VALU_DEP_1) | instskip(SKIP_2) | instid1(VALU_DEP_4)
	v_dual_cndmask_b32 v10, v11, v10 :: v_dual_add_nc_u32 v9, 1, v19
	v_subrev_nc_u32_e32 v11, s41, v7
	v_ashrrev_i32_e32 v1, 31, v1
	v_subrev_nc_u32_e32 v18, s41, v6
	v_cmp_le_u32_e64 s2, s41, v6
	s_delay_alu instid0(VALU_DEP_4) | instskip(NEXT) | instid1(VALU_DEP_2)
	v_dual_cndmask_b32 v7, v7, v11, vcc_lo :: v_dual_add_nc_u32 v11, 1, v10
	v_dual_cndmask_b32 v9, v19, v9, s2 :: v_dual_cndmask_b32 v6, v6, v18, s2
	s_delay_alu instid0(VALU_DEP_2) | instskip(SKIP_1) | instid1(VALU_DEP_3)
	v_cmp_le_u32_e32 vcc_lo, s41, v7
	v_dual_add_nc_u32 v19, 1, v8 :: v_dual_bitop2_b32 v1, s21, v1 bitop3:0x14
	v_dual_cndmask_b32 v7, v10, v11 :: v_dual_add_nc_u32 v18, 1, v9
	s_delay_alu instid0(VALU_DEP_4) | instskip(NEXT) | instid1(VALU_DEP_2)
	v_cmp_le_u32_e32 vcc_lo, s41, v6
	v_dual_cndmask_b32 v6, v9, v18, vcc_lo :: v_dual_bitop2_b32 v7, s21, v7 bitop3:0x14
	s_delay_alu instid0(VALU_DEP_1) | instskip(NEXT) | instid1(VALU_DEP_2)
	v_subrev_nc_u32_e32 v7, s21, v7
	v_xor_b32_e32 v6, v6, v1
	s_delay_alu instid0(VALU_DEP_1) | instskip(NEXT) | instid1(VALU_DEP_1)
	v_sub_nc_u32_e32 v1, v6, v1
	v_mad_u32 v18, v7, s7, v1
	v_lshl_add_u64 v[6:7], v[4:5], 2, v[2:3]
	v_mov_b32_e32 v5, v17
	s_delay_alu instid0(VALU_DEP_3)
	v_cmp_lt_i32_e64 s2, v18, v19
	s_branch .LBB15_17
.LBB15_16:                              ;   in Loop: Header=BB15_17 Depth=3
	s_or_b32 exec_lo, exec_lo, s50
	s_delay_alu instid0(VALU_DEP_1) | instskip(SKIP_2) | instid1(SALU_CYCLE_1)
	v_cmp_ge_i32_e32 vcc_lo, v20, v16
	v_dual_mov_b32 v22, v20 :: v_dual_add_nc_u32 v5, s7, v5
	s_or_b32 s49, vcc_lo, s49
	s_and_not1_b32 exec_lo, exec_lo, s49
	s_cbranch_execz .LBB15_9
.LBB15_17:                              ;   Parent Loop BB15_3 Depth=1
                                        ;     Parent Loop BB15_10 Depth=2
                                        ; =>    This Loop Header: Depth=3
                                        ;         Child Loop BB15_24 Depth 4
	s_delay_alu instid0(VALU_DEP_1) | instskip(NEXT) | instid1(VALU_DEP_2)
	v_add_nc_u32_e32 v20, 1, v22
	s_and_saveexec_b32 s50, s2
	s_cbranch_execz .LBB15_16
; %bb.18:                               ;   in Loop: Header=BB15_17 Depth=3
	s_delay_alu instid0(VALU_DEP_1) | instskip(SKIP_1) | instid1(VALU_DEP_1)
	v_mad_nc_i64_i32 v[8:9], v20, s16, -1
                                        ; implicit-def: $vgpr10_vgpr11
	s_mov_b32 s3, exec_lo
	v_or_b32_e32 v1, s15, v9
	s_delay_alu instid0(VALU_DEP_1)
	v_cmpx_ne_u64_e32 0, v[0:1]
	s_xor_b32 s51, exec_lo, s3
	s_cbranch_execz .LBB15_20
; %bb.19:                               ;   in Loop: Header=BB15_17 Depth=3
	s_ashr_i32 s36, s15, 31
	v_dual_mov_b32 v25, v0 :: v_dual_ashrrev_i32 v10, 31, v9
	s_mov_b32 s37, s36
	v_mov_b32_e32 v33, v0
	s_add_nc_u64 s[38:39], s[14:15], s[36:37]
	s_delay_alu instid0(VALU_DEP_2) | instskip(SKIP_1) | instid1(SALU_CYCLE_1)
	v_mov_b32_e32 v11, v10
	s_xor_b64 s[38:39], s[38:39], s[36:37]
	s_cvt_f32_u32 s3, s38
	s_cvt_f32_u32 s8, s39
	s_sub_nc_u64 s[54:55], 0, s[38:39]
	v_add_nc_u64_e32 v[8:9], v[8:9], v[10:11]
	v_mov_b32_e32 v29, v0
	s_fmamk_f32 s3, s8, 0x4f800000, s3
	s_delay_alu instid0(SALU_CYCLE_3) | instskip(NEXT) | instid1(VALU_DEP_2)
	v_s_rcp_f32 s3, s3
	v_xor_b32_e32 v24, v8, v10
	s_delay_alu instid0(VALU_DEP_3) | instskip(SKIP_1) | instid1(TRANS32_DEP_1)
	v_xor_b32_e32 v28, v9, v10
	v_xor_b32_e32 v10, s36, v10
	s_mul_f32 s3, s3, 0x5f7ffffc
	s_delay_alu instid0(SALU_CYCLE_3) | instskip(NEXT) | instid1(SALU_CYCLE_3)
	s_mul_f32 s8, s3, 0x2f800000
	s_trunc_f32 s8, s8
	s_delay_alu instid0(SALU_CYCLE_3) | instskip(SKIP_1) | instid1(SALU_CYCLE_2)
	s_fmamk_f32 s3, s8, 0xcf800000, s3
	s_cvt_u32_f32 s53, s8
	s_cvt_u32_f32 s52, s3
	s_delay_alu instid0(SALU_CYCLE_3) | instskip(NEXT) | instid1(SALU_CYCLE_1)
	s_mul_u64 s[56:57], s[54:55], s[52:53]
	s_mul_hi_u32 s59, s52, s57
	s_mul_i32 s58, s52, s57
	s_mul_hi_u32 s8, s52, s56
	s_mul_i32 s37, s53, s56
	s_add_nc_u64 s[58:59], s[8:9], s[58:59]
	s_mul_hi_u32 s3, s53, s56
	s_mul_hi_u32 s60, s53, s57
	s_add_co_u32 s8, s58, s37
	s_add_co_ci_u32 s8, s59, s3
	s_mul_i32 s56, s53, s57
	s_add_co_ci_u32 s57, s60, 0
	s_delay_alu instid0(SALU_CYCLE_1) | instskip(NEXT) | instid1(SALU_CYCLE_1)
	s_add_nc_u64 s[56:57], s[8:9], s[56:57]
	s_add_co_u32 s52, s52, s56
	s_cselect_b32 s3, -1, 0
	s_delay_alu instid0(SALU_CYCLE_1) | instskip(SKIP_1) | instid1(SALU_CYCLE_1)
	s_cmp_lg_u32 s3, 0
	s_add_co_ci_u32 s53, s53, s57
	s_mul_u64 s[54:55], s[54:55], s[52:53]
	s_delay_alu instid0(SALU_CYCLE_1)
	s_mul_hi_u32 s57, s52, s55
	s_mul_i32 s56, s52, s55
	s_mul_hi_u32 s8, s52, s54
	s_mul_i32 s37, s53, s54
	s_add_nc_u64 s[56:57], s[8:9], s[56:57]
	s_mul_hi_u32 s3, s53, s54
	s_mul_hi_u32 s58, s53, s55
	s_add_co_u32 s8, s56, s37
	s_add_co_ci_u32 s8, s57, s3
	s_mul_i32 s54, s53, s55
	s_add_co_ci_u32 s55, s58, 0
	s_delay_alu instid0(SALU_CYCLE_1) | instskip(NEXT) | instid1(SALU_CYCLE_1)
	s_add_nc_u64 s[54:55], s[8:9], s[54:55]
	s_add_co_u32 s52, s52, s54
	s_cselect_b32 s3, -1, 0
	v_mul_hi_u32 v32, v24, s52
	s_cmp_lg_u32 s3, 0
	s_add_co_ci_u32 s8, s53, s55
	s_and_b64 s[54:55], s[52:53], s[30:31]
	v_mul_u64_e32 v[26:27], s[8:9], v[24:25]
	v_mul_u64_e32 v[8:9], s[54:55], v[28:29]
	;; [unrolled: 1-line block ×3, first 2 shown]
	s_delay_alu instid0(VALU_DEP_3) | instskip(NEXT) | instid1(VALU_DEP_1)
	v_add_nc_u64_e32 v[26:27], v[32:33], v[26:27]
	v_add_co_u32 v1, vcc_lo, v26, v8
	s_delay_alu instid0(VALU_DEP_2) | instskip(NEXT) | instid1(VALU_DEP_4)
	v_add_co_ci_u32_e32 v32, vcc_lo, v27, v9, vcc_lo
	v_add_co_ci_u32_e32 v31, vcc_lo, 0, v31, vcc_lo
	s_delay_alu instid0(VALU_DEP_1) | instskip(NEXT) | instid1(VALU_DEP_1)
	v_add_nc_u64_e32 v[8:9], v[32:33], v[30:31]
	v_mul_u64_e32 v[26:27], s[38:39], v[8:9]
	s_delay_alu instid0(VALU_DEP_1) | instskip(NEXT) | instid1(VALU_DEP_2)
	v_sub_nc_u32_e32 v1, v28, v27
	v_sub_co_u32 v11, vcc_lo, v24, v26
	s_delay_alu instid0(VALU_DEP_1) | instskip(NEXT) | instid1(VALU_DEP_3)
	v_sub_co_ci_u32_e64 v23, null, v28, v27, vcc_lo
	v_subrev_co_ci_u32_e64 v1, null, s39, v1, vcc_lo
	s_delay_alu instid0(VALU_DEP_3) | instskip(SKIP_1) | instid1(VALU_DEP_3)
	v_sub_co_u32 v21, s3, v11, s38
	v_add_nc_u64_e32 v[26:27], 1, v[8:9]
	v_subrev_co_ci_u32_e64 v1, null, 0, v1, s3
	s_delay_alu instid0(VALU_DEP_3) | instskip(SKIP_1) | instid1(VALU_DEP_3)
	v_cmp_le_u32_e32 vcc_lo, s38, v21
	v_cndmask_b32_e64 v21, 0, -1, vcc_lo
	v_cmp_le_u32_e32 vcc_lo, s39, v1
	v_cndmask_b32_e64 v24, 0, -1, vcc_lo
	;; [unrolled: 2-line block ×4, first 2 shown]
	v_cmp_eq_u32_e32 vcc_lo, s39, v1
	v_cndmask_b32_e32 v1, v24, v21, vcc_lo
	v_cmp_eq_u32_e32 vcc_lo, s39, v23
	v_add_nc_u64_e32 v[24:25], 2, v[8:9]
	v_cndmask_b32_e32 v11, v28, v11, vcc_lo
	s_delay_alu instid0(VALU_DEP_4) | instskip(NEXT) | instid1(VALU_DEP_2)
	v_cmp_ne_u32_e32 vcc_lo, 0, v1
	v_cmp_ne_u32_e64 s3, 0, v11
	s_delay_alu instid0(VALU_DEP_4) | instskip(NEXT) | instid1(VALU_DEP_1)
	v_dual_cndmask_b32 v1, v27, v25, vcc_lo :: v_dual_cndmask_b32 v11, v26, v24, vcc_lo
	v_dual_cndmask_b32 v1, v9, v1, s3 :: v_dual_cndmask_b32 v8, v8, v11, s3
	s_delay_alu instid0(VALU_DEP_1) | instskip(NEXT) | instid1(VALU_DEP_2)
	v_dual_mov_b32 v11, v10 :: v_dual_bitop2_b32 v9, v1, v10 bitop3:0x14
	v_xor_b32_e32 v8, v8, v10
	s_delay_alu instid0(VALU_DEP_1)
	v_sub_nc_u64_e32 v[10:11], v[8:9], v[10:11]
                                        ; implicit-def: $vgpr8_vgpr9
.LBB15_20:                              ;   in Loop: Header=BB15_17 Depth=3
	s_and_not1_saveexec_b32 s3, s51
	s_cbranch_execz .LBB15_22
; %bb.21:                               ;   in Loop: Header=BB15_17 Depth=3
	v_cvt_f32_u32_e32 v1, s14
	s_sub_co_i32 s8, 0, s14
	s_delay_alu instid0(VALU_DEP_1) | instskip(SKIP_1) | instid1(TRANS32_DEP_1)
	v_rcp_iflag_f32_e32 v1, v1
	v_nop
	v_mul_f32_e32 v1, 0x4f7ffffe, v1
	s_delay_alu instid0(VALU_DEP_1) | instskip(NEXT) | instid1(VALU_DEP_1)
	v_cvt_u32_f32_e32 v1, v1
	v_mul_lo_u32 v9, s8, v1
	s_delay_alu instid0(VALU_DEP_1) | instskip(NEXT) | instid1(VALU_DEP_1)
	v_mul_hi_u32 v9, v1, v9
	v_add_nc_u32_e32 v1, v1, v9
	s_delay_alu instid0(VALU_DEP_1) | instskip(NEXT) | instid1(VALU_DEP_1)
	v_mul_hi_u32 v1, v8, v1
	v_mul_lo_u32 v9, v1, s14
	s_delay_alu instid0(VALU_DEP_1) | instskip(SKIP_1) | instid1(VALU_DEP_2)
	v_sub_nc_u32_e32 v8, v8, v9
	v_add_nc_u32_e32 v9, 1, v1
	v_subrev_nc_u32_e32 v10, s14, v8
	v_cmp_le_u32_e32 vcc_lo, s14, v8
	s_delay_alu instid0(VALU_DEP_2) | instskip(NEXT) | instid1(VALU_DEP_1)
	v_dual_cndmask_b32 v8, v8, v10 :: v_dual_cndmask_b32 v1, v1, v9
	v_cmp_le_u32_e32 vcc_lo, s14, v8
	s_delay_alu instid0(VALU_DEP_2) | instskip(NEXT) | instid1(VALU_DEP_1)
	v_add_nc_u32_e32 v9, 1, v1
	v_cndmask_b32_e32 v10, v1, v9, vcc_lo
.LBB15_22:                              ;   in Loop: Header=BB15_17 Depth=3
	s_or_b32 exec_lo, exec_lo, s3
	global_load_b32 v21, v[6:7], off
	v_dual_sub_nc_u32 v1, 0, v22 :: v_dual_mov_b32 v9, v0
	s_mov_b32 s51, 0
	s_delay_alu instid0(VALU_DEP_1) | instskip(NEXT) | instid1(VALU_DEP_1)
	v_dual_ashrrev_i32 v11, 31, v22 :: v_dual_max_i32 v8, v22, v1
	v_xor_b32_e32 v11, s15, v11
	s_delay_alu instid0(VALU_DEP_2) | instskip(NEXT) | instid1(VALU_DEP_1)
	v_mul_u64_e32 v[24:25], s[26:27], v[8:9]
	v_mul_lo_u32 v1, v25, s43
	s_delay_alu instid0(VALU_DEP_1) | instskip(SKIP_1) | instid1(VALU_DEP_2)
	v_sub_nc_u32_e32 v1, v8, v1
	v_add_nc_u32_e32 v8, 1, v25
	v_cmp_le_u32_e32 vcc_lo, s43, v1
	s_delay_alu instid0(VALU_DEP_2) | instskip(SKIP_1) | instid1(VALU_DEP_1)
	v_cndmask_b32_e32 v8, v25, v8, vcc_lo
	v_subrev_nc_u32_e32 v9, s43, v1
	v_dual_cndmask_b32 v1, v1, v9, vcc_lo :: v_dual_add_nc_u32 v9, 1, v8
	s_delay_alu instid0(VALU_DEP_1) | instskip(NEXT) | instid1(VALU_DEP_2)
	v_cmp_le_u32_e32 vcc_lo, s43, v1
	v_cndmask_b32_e32 v1, v8, v9, vcc_lo
	s_delay_alu instid0(VALU_DEP_1) | instskip(NEXT) | instid1(VALU_DEP_1)
	v_xor_b32_e32 v1, v1, v11
	v_sub_nc_u32_e32 v1, v1, v11
	s_delay_alu instid0(VALU_DEP_1) | instskip(NEXT) | instid1(VALU_DEP_1)
	v_mul_lo_u32 v8, v1, s6
	v_sub_nc_u32_e32 v8, v22, v8
	s_delay_alu instid0(VALU_DEP_1) | instskip(NEXT) | instid1(VALU_DEP_1)
	v_mul_lo_u32 v11, v8, s4
	v_dual_mov_b32 v9, v0 :: v_dual_sub_nc_u32 v8, 0, v11
	s_delay_alu instid0(VALU_DEP_1) | instskip(SKIP_1) | instid1(VALU_DEP_2)
	v_dual_ashrrev_i32 v11, 31, v11 :: v_dual_max_i32 v8, v11, v8
	v_mul_lo_u32 v1, v1, s4
	v_mul_u64_e32 v[22:23], s[26:27], v[8:9]
	s_delay_alu instid0(VALU_DEP_3) | instskip(NEXT) | instid1(VALU_DEP_2)
	v_xor_b32_e32 v11, s15, v11
	v_mul_lo_u32 v9, v23, s43
	s_delay_alu instid0(VALU_DEP_1) | instskip(NEXT) | instid1(VALU_DEP_1)
	v_dual_sub_nc_u32 v8, v8, v9 :: v_dual_add_nc_u32 v9, 1, v23
	v_subrev_nc_u32_e32 v22, s43, v8
	v_cmp_le_u32_e32 vcc_lo, s43, v8
	s_delay_alu instid0(VALU_DEP_2) | instskip(NEXT) | instid1(VALU_DEP_1)
	v_dual_cndmask_b32 v9, v23, v9 :: v_dual_cndmask_b32 v8, v8, v22
	v_dual_mov_b32 v23, v18 :: v_dual_add_nc_u32 v22, 1, v9
	s_delay_alu instid0(VALU_DEP_2) | instskip(NEXT) | instid1(VALU_DEP_2)
	v_cmp_le_u32_e32 vcc_lo, s43, v8
	v_cndmask_b32_e32 v8, v9, v22, vcc_lo
	v_not_b32_e32 v9, v10
	s_delay_alu instid0(VALU_DEP_2) | instskip(NEXT) | instid1(VALU_DEP_1)
	v_dual_add_nc_u32 v10, 1, v18 :: v_dual_bitop2_b32 v8, v8, v11 bitop3:0x14
	v_sub_nc_u32_e32 v8, v8, v11
	s_delay_alu instid0(VALU_DEP_1) | instskip(NEXT) | instid1(VALU_DEP_3)
	v_add3_u32 v1, v8, v1, v9
	v_mad_nc_i64_i32 v[8:9], s20, v10, -1
	s_delay_alu instid0(VALU_DEP_2)
	v_cvt_f32_i32_e32 v22, v1
	s_branch .LBB15_24
.LBB15_23:                              ;   in Loop: Header=BB15_24 Depth=4
	s_or_b32 exec_lo, exec_lo, s3
	v_dual_add_nc_u32 v1, v5, v23 :: v_dual_sub_nc_u32 v11, 0, v23
	v_mov_b32_e32 v25, v0
	s_delay_alu instid0(VALU_DEP_3) | instskip(SKIP_3) | instid1(VALU_DEP_1)
	v_not_b32_e32 v10, v10
	v_add_nc_u64_e32 v[8:9], s[20:21], v[8:9]
	global_load_b32 v1, v1, s[10:11] scale_offset
	v_max_i32_e32 v24, v23, v11
	v_mul_u64_e32 v[26:27], s[28:29], v[24:25]
	s_delay_alu instid0(VALU_DEP_1) | instskip(NEXT) | instid1(VALU_DEP_1)
	v_mul_lo_u32 v11, v27, s44
	v_sub_nc_u32_e32 v11, v24, v11
	s_delay_alu instid0(VALU_DEP_1) | instskip(SKIP_1) | instid1(VALU_DEP_1)
	v_cmp_le_u32_e32 vcc_lo, s44, v11
	v_add_nc_u32_e32 v24, 1, v27
	v_cndmask_b32_e32 v24, v27, v24, vcc_lo
	v_subrev_nc_u32_e32 v25, s44, v11
	s_delay_alu instid0(VALU_DEP_1) | instskip(NEXT) | instid1(VALU_DEP_3)
	v_dual_cndmask_b32 v11, v11, v25 :: v_dual_ashrrev_i32 v26, 31, v23
	v_add_nc_u32_e32 v25, 1, v24
	s_delay_alu instid0(VALU_DEP_2) | instskip(NEXT) | instid1(VALU_DEP_2)
	v_cmp_le_u32_e32 vcc_lo, s44, v11
	v_dual_cndmask_b32 v11, v24, v25, vcc_lo :: v_dual_bitop2_b32 v26, s19, v26 bitop3:0x14
	s_delay_alu instid0(VALU_DEP_1) | instskip(NEXT) | instid1(VALU_DEP_1)
	v_dual_mov_b32 v25, v0 :: v_dual_bitop2_b32 v11, v11, v26 bitop3:0x14
	v_sub_nc_u32_e32 v11, v11, v26
	s_delay_alu instid0(VALU_DEP_1) | instskip(SKIP_2) | instid1(VALU_DEP_3)
	v_mad_u32 v24, s45, v11, v23
	v_mul_lo_u32 v11, v11, s5
	v_add_nc_u32_e32 v23, 1, v23
	v_mul_lo_u32 v28, v24, s5
	s_delay_alu instid0(VALU_DEP_1) | instskip(NEXT) | instid1(VALU_DEP_1)
	v_sub_nc_u32_e32 v24, 0, v28
	v_max_i32_e32 v24, v28, v24
	v_ashrrev_i32_e32 v28, 31, v28
	s_delay_alu instid0(VALU_DEP_2) | instskip(NEXT) | instid1(VALU_DEP_2)
	v_mul_u64_e32 v[26:27], s[28:29], v[24:25]
	v_xor_b32_e32 v28, s19, v28
	s_delay_alu instid0(VALU_DEP_2) | instskip(NEXT) | instid1(VALU_DEP_1)
	v_mul_lo_u32 v25, v27, s44
	v_dual_sub_nc_u32 v24, v24, v25 :: v_dual_add_nc_u32 v25, 1, v27
	s_delay_alu instid0(VALU_DEP_1) | instskip(SKIP_1) | instid1(VALU_DEP_2)
	v_subrev_nc_u32_e32 v30, s44, v24
	v_cmp_le_u32_e32 vcc_lo, s44, v24
	v_dual_cndmask_b32 v25, v27, v25 :: v_dual_cndmask_b32 v24, v24, v30
	s_delay_alu instid0(VALU_DEP_1) | instskip(SKIP_3) | instid1(VALU_DEP_2)
	v_cmp_le_u32_e32 vcc_lo, s44, v24
	s_wait_loadcnt 0x0
	v_div_scale_f32 v26, null, v22, v22, v1
	v_div_scale_f32 v27, s3, v1, v22, v1
	v_rcp_f32_e32 v29, v26
	v_nop
	s_delay_alu instid0(TRANS32_DEP_1) | instskip(NEXT) | instid1(VALU_DEP_1)
	v_fma_f32 v31, -v26, v29, 1.0
	v_fmac_f32_e32 v29, v31, v29
	s_delay_alu instid0(VALU_DEP_1) | instskip(SKIP_1) | instid1(VALU_DEP_1)
	v_mul_f32_e32 v31, v27, v29
	v_add_nc_u32_e32 v30, 1, v25
	v_dual_cndmask_b32 v24, v25, v30, vcc_lo :: v_dual_fma_f32 v25, -v26, v31, v27
	s_mov_b32 vcc_lo, s3
	s_delay_alu instid0(VALU_DEP_1) | instskip(NEXT) | instid1(VALU_DEP_1)
	v_dual_fmac_f32 v31, v25, v29 :: v_dual_bitop2_b32 v24, v24, v28 bitop3:0x14
	v_dual_sub_nc_u32 v24, v24, v28 :: v_dual_fma_f32 v25, -v26, v31, v27
	s_delay_alu instid0(VALU_DEP_1) | instskip(NEXT) | instid1(VALU_DEP_2)
	v_add3_u32 v10, v24, v11, v10
	v_div_fmas_f32 v11, v25, v29, v31
	s_delay_alu instid0(VALU_DEP_2) | instskip(SKIP_1) | instid1(VALU_DEP_2)
	v_cvt_f32_i32_e32 v10, v10
	s_wait_xcnt 0x0
	v_div_fixup_f32 v1, v11, v22, v1
	s_delay_alu instid0(VALU_DEP_1) | instskip(NEXT) | instid1(VALU_DEP_1)
	v_div_scale_f32 v11, null, v10, v10, v1
	v_rcp_f32_e32 v24, v11
	v_nop
	s_delay_alu instid0(TRANS32_DEP_1) | instskip(NEXT) | instid1(VALU_DEP_1)
	v_fma_f32 v25, -v11, v24, 1.0
	v_fmac_f32_e32 v24, v25, v24
	v_div_scale_f32 v25, vcc_lo, v1, v10, v1
	s_delay_alu instid0(VALU_DEP_1) | instskip(NEXT) | instid1(VALU_DEP_1)
	v_mul_f32_e32 v26, v25, v24
	v_fma_f32 v27, -v11, v26, v25
	s_delay_alu instid0(VALU_DEP_1) | instskip(NEXT) | instid1(VALU_DEP_1)
	v_fmac_f32_e32 v26, v27, v24
	v_fma_f32 v11, -v11, v26, v25
	s_delay_alu instid0(VALU_DEP_1) | instskip(SKIP_1) | instid1(VALU_DEP_2)
	v_div_fmas_f32 v11, v11, v24, v26
	v_cmp_ge_i32_e32 vcc_lo, v23, v19
	v_div_fixup_f32 v1, v11, v10, v1
	s_or_b32 s51, vcc_lo, s51
	s_delay_alu instid0(VALU_DEP_1)
	v_add_f32_e32 v21, v21, v1
	global_store_b32 v[6:7], v21, off
	s_wait_xcnt 0x0
	s_and_not1_b32 exec_lo, exec_lo, s51
	s_cbranch_execz .LBB15_16
.LBB15_24:                              ;   Parent Loop BB15_3 Depth=1
                                        ;     Parent Loop BB15_10 Depth=2
                                        ;       Parent Loop BB15_17 Depth=3
                                        ; =>      This Inner Loop Header: Depth=4
	s_delay_alu instid0(VALU_DEP_2) | instskip(SKIP_2) | instid1(VALU_DEP_1)
	v_or_b32_e32 v1, s19, v9
                                        ; implicit-def: $vgpr10_vgpr11
	s_mov_b32 s3, exec_lo
	s_wait_xcnt 0x0
	v_cmpx_ne_u64_e32 0, v[0:1]
	s_xor_b32 s52, exec_lo, s3
	s_cbranch_execz .LBB15_26
; %bb.25:                               ;   in Loop: Header=BB15_24 Depth=4
	s_ashr_i32 s36, s19, 31
	v_dual_mov_b32 v27, v0 :: v_dual_ashrrev_i32 v10, 31, v9
	s_mov_b32 s37, s36
	s_delay_alu instid0(SALU_CYCLE_1) | instskip(NEXT) | instid1(VALU_DEP_1)
	s_add_nc_u64 s[38:39], s[18:19], s[36:37]
	v_mov_b32_e32 v11, v10
	s_xor_b64 s[38:39], s[38:39], s[36:37]
	s_delay_alu instid0(SALU_CYCLE_1)
	s_cvt_f32_u32 s3, s38
	s_cvt_f32_u32 s8, s39
	s_sub_nc_u64 s[56:57], 0, s[38:39]
	v_add_nc_u64_e32 v[24:25], v[8:9], v[10:11]
	v_mov_b32_e32 v31, v0
	s_fmamk_f32 s3, s8, 0x4f800000, s3
	s_delay_alu instid0(SALU_CYCLE_3) | instskip(NEXT) | instid1(VALU_DEP_2)
	v_s_rcp_f32 s3, s3
	v_xor_b32_e32 v26, v24, v10
	s_delay_alu instid0(VALU_DEP_3) | instskip(SKIP_1) | instid1(TRANS32_DEP_1)
	v_dual_mov_b32 v35, v0 :: v_dual_bitop2_b32 v30, v25, v10 bitop3:0x14
	v_xor_b32_e32 v10, s36, v10
	s_mul_f32 s3, s3, 0x5f7ffffc
	s_delay_alu instid0(SALU_CYCLE_3) | instskip(NEXT) | instid1(SALU_CYCLE_3)
	s_mul_f32 s8, s3, 0x2f800000
	s_trunc_f32 s8, s8
	s_delay_alu instid0(SALU_CYCLE_3) | instskip(SKIP_1) | instid1(SALU_CYCLE_2)
	s_fmamk_f32 s3, s8, 0xcf800000, s3
	s_cvt_u32_f32 s55, s8
	s_cvt_u32_f32 s54, s3
	s_delay_alu instid0(SALU_CYCLE_3) | instskip(NEXT) | instid1(SALU_CYCLE_1)
	s_mul_u64 s[58:59], s[56:57], s[54:55]
	s_mul_hi_u32 s61, s54, s59
	s_mul_i32 s60, s54, s59
	s_mul_hi_u32 s8, s54, s58
	s_mul_i32 s37, s55, s58
	s_add_nc_u64 s[60:61], s[8:9], s[60:61]
	s_mul_hi_u32 s3, s55, s58
	s_mul_hi_u32 s53, s55, s59
	s_add_co_u32 s8, s60, s37
	s_add_co_ci_u32 s8, s61, s3
	s_mul_i32 s58, s55, s59
	s_add_co_ci_u32 s59, s53, 0
	s_delay_alu instid0(SALU_CYCLE_1) | instskip(NEXT) | instid1(SALU_CYCLE_1)
	s_add_nc_u64 s[58:59], s[8:9], s[58:59]
	s_add_co_u32 s54, s54, s58
	s_cselect_b32 s3, -1, 0
	s_delay_alu instid0(SALU_CYCLE_1) | instskip(SKIP_1) | instid1(SALU_CYCLE_1)
	s_cmp_lg_u32 s3, 0
	s_add_co_ci_u32 s55, s55, s59
	s_mul_u64 s[56:57], s[56:57], s[54:55]
	s_delay_alu instid0(SALU_CYCLE_1)
	s_mul_hi_u32 s59, s54, s57
	s_mul_i32 s58, s54, s57
	s_mul_hi_u32 s8, s54, s56
	s_mul_i32 s37, s55, s56
	s_add_nc_u64 s[58:59], s[8:9], s[58:59]
	s_mul_hi_u32 s3, s55, s56
	s_mul_hi_u32 s53, s55, s57
	s_add_co_u32 s8, s58, s37
	s_add_co_ci_u32 s8, s59, s3
	s_mul_i32 s56, s55, s57
	s_add_co_ci_u32 s57, s53, 0
	s_delay_alu instid0(SALU_CYCLE_1) | instskip(NEXT) | instid1(SALU_CYCLE_1)
	s_add_nc_u64 s[56:57], s[8:9], s[56:57]
	s_add_co_u32 s54, s54, s56
	s_cselect_b32 s3, -1, 0
	v_mul_hi_u32 v34, v26, s54
	s_cmp_lg_u32 s3, 0
	s_add_co_ci_u32 s8, s55, s57
	s_and_b64 s[56:57], s[54:55], s[30:31]
	v_mul_u64_e32 v[28:29], s[8:9], v[26:27]
	v_mul_u64_e32 v[24:25], s[56:57], v[30:31]
	;; [unrolled: 1-line block ×3, first 2 shown]
	s_delay_alu instid0(VALU_DEP_3) | instskip(NEXT) | instid1(VALU_DEP_1)
	v_add_nc_u64_e32 v[28:29], v[34:35], v[28:29]
	v_add_co_u32 v1, vcc_lo, v28, v24
	s_delay_alu instid0(VALU_DEP_2) | instskip(NEXT) | instid1(VALU_DEP_4)
	v_add_co_ci_u32_e32 v34, vcc_lo, v29, v25, vcc_lo
	v_add_co_ci_u32_e32 v33, vcc_lo, 0, v33, vcc_lo
	s_delay_alu instid0(VALU_DEP_1) | instskip(NEXT) | instid1(VALU_DEP_1)
	v_add_nc_u64_e32 v[24:25], v[34:35], v[32:33]
	v_mul_u64_e32 v[28:29], s[38:39], v[24:25]
	s_delay_alu instid0(VALU_DEP_1) | instskip(NEXT) | instid1(VALU_DEP_2)
	v_sub_nc_u32_e32 v1, v30, v29
	v_sub_co_u32 v11, vcc_lo, v26, v28
	s_delay_alu instid0(VALU_DEP_1) | instskip(NEXT) | instid1(VALU_DEP_3)
	v_sub_co_ci_u32_e64 v30, null, v30, v29, vcc_lo
	v_subrev_co_ci_u32_e64 v1, null, s39, v1, vcc_lo
	s_delay_alu instid0(VALU_DEP_3) | instskip(SKIP_1) | instid1(VALU_DEP_3)
	v_sub_co_u32 v26, s3, v11, s38
	v_add_nc_u64_e32 v[28:29], 1, v[24:25]
	v_subrev_co_ci_u32_e64 v1, null, 0, v1, s3
	s_delay_alu instid0(VALU_DEP_3) | instskip(SKIP_1) | instid1(VALU_DEP_3)
	v_cmp_le_u32_e32 vcc_lo, s38, v26
	v_cndmask_b32_e64 v26, 0, -1, vcc_lo
	v_cmp_le_u32_e32 vcc_lo, s39, v1
	v_cndmask_b32_e64 v27, 0, -1, vcc_lo
	;; [unrolled: 2-line block ×4, first 2 shown]
	v_cmp_eq_u32_e32 vcc_lo, s39, v1
	v_cndmask_b32_e32 v1, v27, v26, vcc_lo
	v_cmp_eq_u32_e32 vcc_lo, s39, v30
	v_add_nc_u64_e32 v[26:27], 2, v[24:25]
	v_cndmask_b32_e32 v11, v31, v11, vcc_lo
	s_delay_alu instid0(VALU_DEP_4) | instskip(NEXT) | instid1(VALU_DEP_2)
	v_cmp_ne_u32_e32 vcc_lo, 0, v1
	v_cmp_ne_u32_e64 s3, 0, v11
	s_delay_alu instid0(VALU_DEP_4) | instskip(NEXT) | instid1(VALU_DEP_1)
	v_dual_cndmask_b32 v1, v29, v27, vcc_lo :: v_dual_cndmask_b32 v11, v28, v26, vcc_lo
	v_dual_cndmask_b32 v24, v24, v11, s3 :: v_dual_mov_b32 v11, v10
	s_delay_alu instid0(VALU_DEP_1) | instskip(NEXT) | instid1(VALU_DEP_1)
	v_dual_cndmask_b32 v1, v25, v1, s3 :: v_dual_bitop2_b32 v24, v24, v10 bitop3:0x14
	v_xor_b32_e32 v25, v1, v10
	s_delay_alu instid0(VALU_DEP_1)
	v_sub_nc_u64_e32 v[10:11], v[24:25], v[10:11]
.LBB15_26:                              ;   in Loop: Header=BB15_24 Depth=4
	s_and_not1_saveexec_b32 s3, s52
	s_cbranch_execz .LBB15_23
; %bb.27:                               ;   in Loop: Header=BB15_24 Depth=4
	v_cvt_f32_u32_e32 v1, s18
	s_sub_co_i32 s8, 0, s18
	s_delay_alu instid0(VALU_DEP_1) | instskip(SKIP_1) | instid1(TRANS32_DEP_1)
	v_rcp_iflag_f32_e32 v1, v1
	v_nop
	v_mul_f32_e32 v1, 0x4f7ffffe, v1
	s_delay_alu instid0(VALU_DEP_1) | instskip(NEXT) | instid1(VALU_DEP_1)
	v_cvt_u32_f32_e32 v1, v1
	v_mul_lo_u32 v10, s8, v1
	s_delay_alu instid0(VALU_DEP_1) | instskip(NEXT) | instid1(VALU_DEP_1)
	v_mul_hi_u32 v10, v1, v10
	v_add_nc_u32_e32 v1, v1, v10
	s_delay_alu instid0(VALU_DEP_1) | instskip(NEXT) | instid1(VALU_DEP_1)
	v_mul_hi_u32 v1, v8, v1
	v_mul_lo_u32 v10, v1, s18
	s_delay_alu instid0(VALU_DEP_1) | instskip(NEXT) | instid1(VALU_DEP_1)
	v_dual_add_nc_u32 v11, 1, v1 :: v_dual_sub_nc_u32 v10, v8, v10
	v_subrev_nc_u32_e32 v24, s18, v10
	v_cmp_le_u32_e32 vcc_lo, s18, v10
	s_delay_alu instid0(VALU_DEP_2) | instskip(NEXT) | instid1(VALU_DEP_1)
	v_dual_cndmask_b32 v10, v10, v24 :: v_dual_cndmask_b32 v1, v1, v11
	v_cmp_le_u32_e32 vcc_lo, s18, v10
	s_delay_alu instid0(VALU_DEP_2) | instskip(NEXT) | instid1(VALU_DEP_1)
	v_add_nc_u32_e32 v11, 1, v1
	v_cndmask_b32_e32 v10, v1, v11, vcc_lo
	s_branch .LBB15_23
.LBB15_28:
	s_endpgm
	.section	.rodata,"a",@progbits
	.p2align	6, 0x0
	.amdhsa_kernel _ZN2at6native12_GLOBAL__N_126adaptive_average_gradinputIfEEvPT_PKS3_iiii
		.amdhsa_group_segment_fixed_size 0
		.amdhsa_private_segment_fixed_size 0
		.amdhsa_kernarg_size 288
		.amdhsa_user_sgpr_count 2
		.amdhsa_user_sgpr_dispatch_ptr 0
		.amdhsa_user_sgpr_queue_ptr 0
		.amdhsa_user_sgpr_kernarg_segment_ptr 1
		.amdhsa_user_sgpr_dispatch_id 0
		.amdhsa_user_sgpr_kernarg_preload_length 0
		.amdhsa_user_sgpr_kernarg_preload_offset 0
		.amdhsa_user_sgpr_private_segment_size 0
		.amdhsa_wavefront_size32 1
		.amdhsa_uses_dynamic_stack 0
		.amdhsa_enable_private_segment 0
		.amdhsa_system_sgpr_workgroup_id_x 1
		.amdhsa_system_sgpr_workgroup_id_y 1
		.amdhsa_system_sgpr_workgroup_id_z 0
		.amdhsa_system_sgpr_workgroup_info 0
		.amdhsa_system_vgpr_workitem_id 1
		.amdhsa_next_free_vgpr 36
		.amdhsa_next_free_sgpr 62
		.amdhsa_named_barrier_count 0
		.amdhsa_reserve_vcc 1
		.amdhsa_float_round_mode_32 0
		.amdhsa_float_round_mode_16_64 0
		.amdhsa_float_denorm_mode_32 3
		.amdhsa_float_denorm_mode_16_64 3
		.amdhsa_fp16_overflow 0
		.amdhsa_memory_ordered 1
		.amdhsa_forward_progress 1
		.amdhsa_inst_pref_size 40
		.amdhsa_round_robin_scheduling 0
		.amdhsa_exception_fp_ieee_invalid_op 0
		.amdhsa_exception_fp_denorm_src 0
		.amdhsa_exception_fp_ieee_div_zero 0
		.amdhsa_exception_fp_ieee_overflow 0
		.amdhsa_exception_fp_ieee_underflow 0
		.amdhsa_exception_fp_ieee_inexact 0
		.amdhsa_exception_int_div_zero 0
	.end_amdhsa_kernel
	.section	.text._ZN2at6native12_GLOBAL__N_126adaptive_average_gradinputIfEEvPT_PKS3_iiii,"axG",@progbits,_ZN2at6native12_GLOBAL__N_126adaptive_average_gradinputIfEEvPT_PKS3_iiii,comdat
.Lfunc_end15:
	.size	_ZN2at6native12_GLOBAL__N_126adaptive_average_gradinputIfEEvPT_PKS3_iiii, .Lfunc_end15-_ZN2at6native12_GLOBAL__N_126adaptive_average_gradinputIfEEvPT_PKS3_iiii
                                        ; -- End function
	.set _ZN2at6native12_GLOBAL__N_126adaptive_average_gradinputIfEEvPT_PKS3_iiii.num_vgpr, 36
	.set _ZN2at6native12_GLOBAL__N_126adaptive_average_gradinputIfEEvPT_PKS3_iiii.num_agpr, 0
	.set _ZN2at6native12_GLOBAL__N_126adaptive_average_gradinputIfEEvPT_PKS3_iiii.numbered_sgpr, 62
	.set _ZN2at6native12_GLOBAL__N_126adaptive_average_gradinputIfEEvPT_PKS3_iiii.num_named_barrier, 0
	.set _ZN2at6native12_GLOBAL__N_126adaptive_average_gradinputIfEEvPT_PKS3_iiii.private_seg_size, 0
	.set _ZN2at6native12_GLOBAL__N_126adaptive_average_gradinputIfEEvPT_PKS3_iiii.uses_vcc, 1
	.set _ZN2at6native12_GLOBAL__N_126adaptive_average_gradinputIfEEvPT_PKS3_iiii.uses_flat_scratch, 0
	.set _ZN2at6native12_GLOBAL__N_126adaptive_average_gradinputIfEEvPT_PKS3_iiii.has_dyn_sized_stack, 0
	.set _ZN2at6native12_GLOBAL__N_126adaptive_average_gradinputIfEEvPT_PKS3_iiii.has_recursion, 0
	.set _ZN2at6native12_GLOBAL__N_126adaptive_average_gradinputIfEEvPT_PKS3_iiii.has_indirect_call, 0
	.section	.AMDGPU.csdata,"",@progbits
; Kernel info:
; codeLenInByte = 5068
; TotalNumSgprs: 64
; NumVgprs: 36
; ScratchSize: 0
; MemoryBound: 0
; FloatMode: 240
; IeeeMode: 1
; LDSByteSize: 0 bytes/workgroup (compile time only)
; SGPRBlocks: 0
; VGPRBlocks: 2
; NumSGPRsForWavesPerEU: 64
; NumVGPRsForWavesPerEU: 36
; NamedBarCnt: 0
; Occupancy: 16
; WaveLimiterHint : 0
; COMPUTE_PGM_RSRC2:SCRATCH_EN: 0
; COMPUTE_PGM_RSRC2:USER_SGPR: 2
; COMPUTE_PGM_RSRC2:TRAP_HANDLER: 0
; COMPUTE_PGM_RSRC2:TGID_X_EN: 1
; COMPUTE_PGM_RSRC2:TGID_Y_EN: 1
; COMPUTE_PGM_RSRC2:TGID_Z_EN: 0
; COMPUTE_PGM_RSRC2:TIDIG_COMP_CNT: 1
	.section	.text._ZN2at6native12_GLOBAL__N_133atomic_adaptive_average_gradinputIN3c104HalfEEEvPT_PKS5_iiii,"axG",@progbits,_ZN2at6native12_GLOBAL__N_133atomic_adaptive_average_gradinputIN3c104HalfEEEvPT_PKS5_iiii,comdat
	.globl	_ZN2at6native12_GLOBAL__N_133atomic_adaptive_average_gradinputIN3c104HalfEEEvPT_PKS5_iiii ; -- Begin function _ZN2at6native12_GLOBAL__N_133atomic_adaptive_average_gradinputIN3c104HalfEEEvPT_PKS5_iiii
	.p2align	8
	.type	_ZN2at6native12_GLOBAL__N_133atomic_adaptive_average_gradinputIN3c104HalfEEEvPT_PKS5_iiii,@function
_ZN2at6native12_GLOBAL__N_133atomic_adaptive_average_gradinputIN3c104HalfEEEvPT_PKS5_iiii: ; @_ZN2at6native12_GLOBAL__N_133atomic_adaptive_average_gradinputIN3c104HalfEEEvPT_PKS5_iiii
; %bb.0:
	s_clause 0x1
	s_load_b32 s2, s[0:1], 0x2c
	s_load_b128 s[8:11], s[0:1], 0x10
	s_bfe_u32 s3, ttmp6, 0x40010
	s_bfe_u32 s4, ttmp6, 0x40004
	s_add_co_i32 s3, s3, 1
	s_getreg_b32 s12, hwreg(HW_REG_IB_STS2, 6, 4)
	s_mul_i32 s3, ttmp7, s3
	v_bfe_u32 v1, v0, 10, 10
	s_add_co_i32 s4, s4, s3
	s_mov_b32 s13, 0
	s_wait_kmcnt 0x0
	s_lshr_b32 s3, s2, 16
	s_cmp_eq_u32 s12, 0
	s_cselect_b32 s4, ttmp7, s4
	s_delay_alu instid0(SALU_CYCLE_1) | instskip(SKIP_1) | instid1(VALU_DEP_1)
	v_mad_u32 v14, s4, s3, v1
	s_mov_b32 s4, exec_lo
	v_cmpx_gt_i32_e64 s10, v14
	s_cbranch_execz .LBB16_26
; %bb.1:
	s_load_b128 s[4:7], s[0:1], 0x0
	s_bfe_u32 s14, ttmp6, 0x4000c
	s_and_b32 s15, ttmp6, 15
	s_add_co_i32 s14, s14, 1
	s_wait_xcnt 0x0
	s_add_nc_u64 s[0:1], s[0:1], 32
	s_mul_i32 s14, ttmp9, s14
	s_load_b32 s35, s[0:1], 0x4
	s_add_co_i32 s15, s15, s14
	s_cmp_eq_u32 s12, 0
	s_mov_b32 s14, s10
	s_wait_xcnt 0x0
	s_cselect_b32 s1, ttmp9, s15
	v_cvt_f32_u32_e32 v1, s14
	s_mul_i32 s0, s10, s1
	s_mul_i32 s12, s8, s1
	;; [unrolled: 1-line block ×4, first 2 shown]
	s_ashr_i32 s1, s0, 31
	v_rcp_iflag_f32_e32 v1, v1
	s_lshl_b64 s[0:1], s[0:1], 1
	s_ashr_i32 s17, s16, 31
	s_wait_kmcnt 0x0
	s_add_nc_u64 s[6:7], s[6:7], s[0:1]
	s_lshl_b64 s[0:1], s[16:17], 1
	s_abs_i32 s34, s11
	s_add_nc_u64 s[16:17], s[4:5], s[0:1]
	s_cvt_f32_u32 s0, s34
	v_and_b32_e32 v15, 0x3ff, v0
	v_mul_f32_e32 v0, 0x4f7ffffe, v1
	s_abs_i32 s33, s10
	v_rcp_iflag_f32_e32 v1, s0
	s_cvt_f32_u32 s12, s33
	s_and_b32 s36, s2, 0xffff
	v_cvt_u32_f32_e32 v0, v0
	s_sub_co_i32 s2, 0, s10
	v_rcp_iflag_f32_e32 v2, s12
	s_mul_i32 s35, s35, s3
	v_readfirstlane_b32 s3, v1
	v_mul_lo_u32 v1, s2, v0
	s_sub_co_i32 s4, 0, s34
	v_cmp_gt_i32_e64 s0, s11, v15
	s_ashr_i32 s15, s10, 31
	v_readfirstlane_b32 s1, v2
	s_mul_f32 s2, s3, 0x4f7ffffe
	s_sub_co_i32 s3, 0, s33
	s_ashr_i32 s21, s11, 31
	s_ashr_i32 s19, s9, 31
	s_mul_f32 s1, s1, 0x4f7ffffe
	s_cvt_u32_f32 s2, s2
	v_mul_hi_u32 v2, v0, v1
	v_mov_b32_e32 v1, 0
	s_cvt_u32_f32 s1, s1
	s_mul_i32 s4, s4, s2
	s_mov_b32 s18, s9
	s_mov_b32 s20, s11
	s_mul_i32 s3, s3, s1
	s_mov_b32 s23, s13
	s_mul_hi_u32 s3, s1, s3
	s_mov_b32 s25, s13
	s_add_co_i32 s22, s1, s3
	v_add_nc_u32_e32 v16, v0, v2
	s_mul_hi_u32 s1, s2, s4
	s_mov_b64 s[26:27], 0xffffffff
	s_add_co_i32 s24, s2, s1
	s_ashr_i32 s28, s15, 31
	s_ashr_i32 s30, s21, 31
	s_mov_b32 s37, 0
	s_branch .LBB16_3
.LBB16_2:                               ;   in Loop: Header=BB16_3 Depth=1
	s_or_b32 exec_lo, exec_lo, s29
	v_add_nc_u32_e32 v14, s35, v14
	s_delay_alu instid0(VALU_DEP_1) | instskip(SKIP_1) | instid1(SALU_CYCLE_1)
	v_cmp_le_i32_e32 vcc_lo, s10, v14
	s_or_b32 s37, vcc_lo, s37
	s_and_not1_b32 exec_lo, exec_lo, s37
	s_cbranch_execz .LBB16_26
.LBB16_3:                               ; =>This Loop Header: Depth=1
                                        ;     Child Loop BB16_10 Depth 2
                                        ;       Child Loop BB16_17 Depth 3
                                        ;         Child Loop BB16_20 Depth 4
                                        ;           Child Loop BB16_22 Depth 5
	v_dual_add_nc_u32 v0, 1, v14 :: v_dual_mov_b32 v4, v1
	s_delay_alu instid0(VALU_DEP_1) | instskip(NEXT) | instid1(VALU_DEP_1)
	v_mad_nc_i64_i32 v[2:3], v0, s8, -1
	v_or_b32_e32 v5, s15, v3
	s_delay_alu instid0(VALU_DEP_1) | instskip(SKIP_1) | instid1(SALU_CYCLE_1)
	v_cmp_ne_u64_e32 vcc_lo, 0, v[4:5]
                                        ; implicit-def: $vgpr4_vgpr5
	s_and_saveexec_b32 s1, vcc_lo
	s_xor_b32 s4, exec_lo, s1
	s_cbranch_execnz .LBB16_6
; %bb.4:                                ;   in Loop: Header=BB16_3 Depth=1
	s_and_not1_saveexec_b32 s1, s4
	s_cbranch_execnz .LBB16_7
.LBB16_5:                               ;   in Loop: Header=BB16_3 Depth=1
	s_or_b32 exec_lo, exec_lo, s1
	s_and_saveexec_b32 s29, s0
	s_cbranch_execz .LBB16_2
	s_branch .LBB16_8
.LBB16_6:                               ;   in Loop: Header=BB16_3 Depth=1
	s_mov_b32 s29, s28
	v_dual_mov_b32 v9, v1 :: v_dual_ashrrev_i32 v4, 31, v3
	s_add_nc_u64 s[2:3], s[14:15], s[28:29]
	v_mov_b32_e32 v13, v1
	s_xor_b64 s[2:3], s[2:3], s[28:29]
	s_delay_alu instid0(VALU_DEP_2) | instskip(SKIP_3) | instid1(VALU_DEP_1)
	v_mov_b32_e32 v5, v4
	s_cvt_f32_u32 s1, s2
	s_cvt_f32_u32 s5, s3
	s_sub_nc_u64 s[40:41], 0, s[2:3]
	v_add_nc_u64_e32 v[2:3], v[2:3], v[4:5]
	s_delay_alu instid0(SALU_CYCLE_1) | instskip(NEXT) | instid1(SALU_CYCLE_3)
	s_fmamk_f32 s1, s5, 0x4f800000, s1
	v_s_rcp_f32 s1, s1
	s_delay_alu instid0(VALU_DEP_1) | instskip(NEXT) | instid1(VALU_DEP_2)
	v_xor_b32_e32 v0, v2, v4
	v_xor_b32_e32 v8, v3, v4
	;; [unrolled: 1-line block ×3, first 2 shown]
	s_delay_alu instid0(TRANS32_DEP_1) | instskip(NEXT) | instid1(SALU_CYCLE_3)
	s_mul_f32 s1, s1, 0x5f7ffffc
	s_mul_f32 s5, s1, 0x2f800000
	s_delay_alu instid0(SALU_CYCLE_3) | instskip(NEXT) | instid1(SALU_CYCLE_3)
	s_trunc_f32 s5, s5
	s_fmamk_f32 s1, s5, 0xcf800000, s1
	s_cvt_u32_f32 s39, s5
	s_delay_alu instid0(SALU_CYCLE_2) | instskip(NEXT) | instid1(SALU_CYCLE_3)
	s_cvt_u32_f32 s38, s1
	s_mul_u64 s[42:43], s[40:41], s[38:39]
	s_delay_alu instid0(SALU_CYCLE_1)
	s_mul_hi_u32 s45, s38, s43
	s_mul_i32 s44, s38, s43
	s_mul_hi_u32 s12, s38, s42
	s_mul_i32 s5, s39, s42
	s_add_nc_u64 s[44:45], s[12:13], s[44:45]
	s_mul_hi_u32 s1, s39, s42
	s_mul_hi_u32 s29, s39, s43
	s_add_co_u32 s5, s44, s5
	s_add_co_ci_u32 s12, s45, s1
	s_mul_i32 s42, s39, s43
	s_add_co_ci_u32 s43, s29, 0
	s_delay_alu instid0(SALU_CYCLE_1) | instskip(NEXT) | instid1(SALU_CYCLE_1)
	s_add_nc_u64 s[42:43], s[12:13], s[42:43]
	s_add_co_u32 s38, s38, s42
	s_cselect_b32 s1, -1, 0
	s_delay_alu instid0(SALU_CYCLE_1) | instskip(SKIP_1) | instid1(SALU_CYCLE_1)
	s_cmp_lg_u32 s1, 0
	s_add_co_ci_u32 s39, s39, s43
	s_mul_u64 s[40:41], s[40:41], s[38:39]
	s_delay_alu instid0(SALU_CYCLE_1)
	s_mul_hi_u32 s43, s38, s41
	s_mul_i32 s42, s38, s41
	s_mul_hi_u32 s12, s38, s40
	s_mul_i32 s5, s39, s40
	s_add_nc_u64 s[42:43], s[12:13], s[42:43]
	s_mul_hi_u32 s1, s39, s40
	s_mul_hi_u32 s29, s39, s41
	s_add_co_u32 s5, s42, s5
	s_add_co_ci_u32 s12, s43, s1
	s_mul_i32 s40, s39, s41
	s_add_co_ci_u32 s41, s29, 0
	s_delay_alu instid0(SALU_CYCLE_1) | instskip(NEXT) | instid1(SALU_CYCLE_1)
	s_add_nc_u64 s[40:41], s[12:13], s[40:41]
	s_add_co_u32 s38, s38, s40
	s_cselect_b32 s1, -1, 0
	v_mul_hi_u32 v12, v0, s38
	s_cmp_lg_u32 s1, 0
	s_add_co_ci_u32 s12, s39, s41
	s_and_b64 s[40:41], s[38:39], s[26:27]
	v_mul_u64_e32 v[6:7], s[12:13], v[0:1]
	v_mul_u64_e32 v[2:3], s[40:41], v[8:9]
	;; [unrolled: 1-line block ×3, first 2 shown]
	s_delay_alu instid0(VALU_DEP_3) | instskip(NEXT) | instid1(VALU_DEP_1)
	v_add_nc_u64_e32 v[6:7], v[12:13], v[6:7]
	v_add_co_u32 v2, vcc_lo, v6, v2
	s_delay_alu instid0(VALU_DEP_2) | instskip(NEXT) | instid1(VALU_DEP_4)
	v_add_co_ci_u32_e32 v12, vcc_lo, v7, v3, vcc_lo
	v_add_co_ci_u32_e32 v11, vcc_lo, 0, v11, vcc_lo
	s_delay_alu instid0(VALU_DEP_1) | instskip(NEXT) | instid1(VALU_DEP_1)
	v_add_nc_u64_e32 v[2:3], v[12:13], v[10:11]
	v_mul_u64_e32 v[6:7], s[2:3], v[2:3]
	s_delay_alu instid0(VALU_DEP_1) | instskip(NEXT) | instid1(VALU_DEP_2)
	v_sub_nc_u32_e32 v5, v8, v7
	v_sub_co_u32 v0, vcc_lo, v0, v6
	s_delay_alu instid0(VALU_DEP_1) | instskip(NEXT) | instid1(VALU_DEP_3)
	v_sub_co_ci_u32_e64 v10, null, v8, v7, vcc_lo
	v_subrev_co_ci_u32_e64 v5, null, s3, v5, vcc_lo
	s_delay_alu instid0(VALU_DEP_3) | instskip(SKIP_1) | instid1(VALU_DEP_3)
	v_sub_co_u32 v6, s1, v0, s2
	v_add_nc_u64_e32 v[8:9], 1, v[2:3]
	v_subrev_co_ci_u32_e64 v5, null, 0, v5, s1
	s_delay_alu instid0(VALU_DEP_3) | instskip(SKIP_1) | instid1(VALU_DEP_3)
	v_cmp_le_u32_e32 vcc_lo, s2, v6
	v_cndmask_b32_e64 v6, 0, -1, vcc_lo
	v_cmp_le_u32_e32 vcc_lo, s3, v5
	v_cndmask_b32_e64 v7, 0, -1, vcc_lo
	;; [unrolled: 2-line block ×4, first 2 shown]
	v_cmp_eq_u32_e32 vcc_lo, s3, v5
	v_cndmask_b32_e32 v5, v7, v6, vcc_lo
	v_cmp_eq_u32_e32 vcc_lo, s3, v10
	v_add_nc_u64_e32 v[6:7], 2, v[2:3]
	v_cndmask_b32_e32 v0, v11, v0, vcc_lo
	s_delay_alu instid0(VALU_DEP_4) | instskip(NEXT) | instid1(VALU_DEP_2)
	v_cmp_ne_u32_e32 vcc_lo, 0, v5
	v_cmp_ne_u32_e64 s1, 0, v0
	s_delay_alu instid0(VALU_DEP_4) | instskip(NEXT) | instid1(VALU_DEP_1)
	v_dual_cndmask_b32 v5, v9, v7 :: v_dual_cndmask_b32 v0, v8, v6
	v_dual_cndmask_b32 v3, v3, v5, s1 :: v_dual_cndmask_b32 v0, v2, v0, s1
	s_delay_alu instid0(VALU_DEP_1) | instskip(NEXT) | instid1(VALU_DEP_2)
	v_dual_mov_b32 v5, v4 :: v_dual_bitop2_b32 v3, v3, v4 bitop3:0x14
	v_xor_b32_e32 v2, v0, v4
	s_delay_alu instid0(VALU_DEP_1)
	v_sub_nc_u64_e32 v[4:5], v[2:3], v[4:5]
                                        ; implicit-def: $vgpr2_vgpr3
	s_and_not1_saveexec_b32 s1, s4
	s_cbranch_execz .LBB16_5
.LBB16_7:                               ;   in Loop: Header=BB16_3 Depth=1
	s_delay_alu instid0(VALU_DEP_3) | instskip(NEXT) | instid1(VALU_DEP_1)
	v_mul_hi_u32 v0, v2, v16
	v_mul_lo_u32 v3, v0, s14
	s_delay_alu instid0(VALU_DEP_1) | instskip(NEXT) | instid1(VALU_DEP_1)
	v_dual_sub_nc_u32 v2, v2, v3 :: v_dual_add_nc_u32 v3, 1, v0
	v_subrev_nc_u32_e32 v4, s14, v2
	v_cmp_le_u32_e32 vcc_lo, s14, v2
	s_delay_alu instid0(VALU_DEP_2) | instskip(NEXT) | instid1(VALU_DEP_1)
	v_dual_cndmask_b32 v2, v2, v4, vcc_lo :: v_dual_cndmask_b32 v0, v0, v3, vcc_lo
	v_cmp_le_u32_e32 vcc_lo, s14, v2
	s_delay_alu instid0(VALU_DEP_2) | instskip(NEXT) | instid1(VALU_DEP_1)
	v_add_nc_u32_e32 v3, 1, v0
	v_cndmask_b32_e32 v4, v0, v3, vcc_lo
	s_or_b32 exec_lo, exec_lo, s1
	s_and_saveexec_b32 s29, s0
	s_cbranch_execz .LBB16_2
.LBB16_8:                               ;   in Loop: Header=BB16_3 Depth=1
	v_sub_nc_u32_e32 v0, 0, v14
	s_mov_b32 s38, 0
	s_delay_alu instid0(VALU_DEP_1) | instskip(NEXT) | instid1(VALU_DEP_1)
	v_max_i32_e32 v0, v14, v0
	v_mul_u64_e32 v[2:3], s[22:23], v[0:1]
	s_delay_alu instid0(VALU_DEP_1) | instskip(NEXT) | instid1(VALU_DEP_1)
	v_mul_lo_u32 v2, v3, s33
	v_dual_sub_nc_u32 v0, v0, v2 :: v_dual_add_nc_u32 v2, 1, v3
	s_delay_alu instid0(VALU_DEP_1) | instskip(SKIP_1) | instid1(VALU_DEP_3)
	v_subrev_nc_u32_e32 v5, s33, v0
	v_cmp_le_u32_e32 vcc_lo, s33, v0
	v_cndmask_b32_e32 v2, v3, v2, vcc_lo
	s_delay_alu instid0(VALU_DEP_3) | instskip(NEXT) | instid1(VALU_DEP_2)
	v_dual_cndmask_b32 v0, v0, v5 :: v_dual_ashrrev_i32 v3, 31, v14
	v_add_nc_u32_e32 v5, 1, v2
	s_delay_alu instid0(VALU_DEP_2) | instskip(NEXT) | instid1(VALU_DEP_2)
	v_cmp_le_u32_e32 vcc_lo, s33, v0
	v_dual_cndmask_b32 v0, v2, v5, vcc_lo :: v_dual_bitop2_b32 v3, s15, v3 bitop3:0x14
	s_delay_alu instid0(VALU_DEP_1) | instskip(NEXT) | instid1(VALU_DEP_1)
	v_xor_b32_e32 v0, v0, v3
	v_sub_nc_u32_e32 v5, v0, v3
	s_delay_alu instid0(VALU_DEP_1) | instskip(NEXT) | instid1(VALU_DEP_1)
	v_mul_lo_u32 v0, v5, s10
	v_sub_nc_u32_e32 v0, v14, v0
	s_delay_alu instid0(VALU_DEP_1) | instskip(NEXT) | instid1(VALU_DEP_1)
	v_mul_lo_u32 v6, v0, s8
	v_sub_nc_u32_e32 v0, 0, v6
	s_delay_alu instid0(VALU_DEP_1) | instskip(NEXT) | instid1(VALU_DEP_1)
	v_max_i32_e32 v0, v6, v0
	v_mul_u64_e32 v[2:3], s[22:23], v[0:1]
	s_delay_alu instid0(VALU_DEP_1) | instskip(NEXT) | instid1(VALU_DEP_1)
	v_mul_lo_u32 v2, v3, s33
	v_dual_sub_nc_u32 v0, v0, v2 :: v_dual_add_nc_u32 v2, 1, v3
	s_delay_alu instid0(VALU_DEP_1) | instskip(NEXT) | instid1(VALU_DEP_2)
	v_cmp_le_u32_e32 vcc_lo, s33, v0
	v_cndmask_b32_e32 v2, v3, v2, vcc_lo
	v_ashrrev_i32_e32 v3, 31, v6
	s_delay_alu instid0(VALU_DEP_2) | instskip(SKIP_1) | instid1(VALU_DEP_1)
	v_add_nc_u32_e32 v6, 1, v2
	v_subrev_nc_u32_e32 v7, s33, v0
	v_cndmask_b32_e32 v0, v0, v7, vcc_lo
	s_delay_alu instid0(VALU_DEP_1) | instskip(NEXT) | instid1(VALU_DEP_4)
	v_cmp_le_u32_e32 vcc_lo, s33, v0
	v_dual_cndmask_b32 v0, v2, v6, vcc_lo :: v_dual_bitop2_b32 v3, s15, v3 bitop3:0x14
	v_mul_lo_u32 v2, v14, s11
	s_delay_alu instid0(VALU_DEP_2) | instskip(NEXT) | instid1(VALU_DEP_1)
	v_xor_b32_e32 v0, v0, v3
	v_dual_sub_nc_u32 v0, v0, v3 :: v_dual_ashrrev_i32 v3, 31, v2
	s_delay_alu instid0(VALU_DEP_1) | instskip(NEXT) | instid1(VALU_DEP_2)
	v_mad_u32 v0, v5, s8, v0
	v_lshl_add_u64 v[2:3], v[2:3], 1, s[6:7]
	s_delay_alu instid0(VALU_DEP_2) | instskip(SKIP_1) | instid1(VALU_DEP_1)
	v_mul_lo_u32 v6, v0, s9
	v_sub_nc_u32_e32 v17, v4, v0
	v_add_nc_u32_e32 v0, 1, v17
	v_cmp_gt_u32_e64 s1, 0x7fffffff, v17
	s_delay_alu instid0(VALU_DEP_2) | instskip(SKIP_1) | instid1(VALU_DEP_2)
	v_cvt_f32_i32_e32 v0, v0
	v_ashrrev_i32_e32 v7, 31, v6
	v_cvt_f16_f32_e32 v18, v0
	s_delay_alu instid0(VALU_DEP_2)
	v_lshl_add_u64 v[4:5], v[6:7], 1, s[16:17]
	v_mov_b32_e32 v6, v15
	s_branch .LBB16_10
.LBB16_9:                               ;   in Loop: Header=BB16_10 Depth=2
	s_or_b32 exec_lo, exec_lo, s5
	v_add_nc_u32_e32 v6, s36, v6
	s_delay_alu instid0(VALU_DEP_1) | instskip(SKIP_1) | instid1(SALU_CYCLE_1)
	v_cmp_le_i32_e32 vcc_lo, s11, v6
	s_or_b32 s38, vcc_lo, s38
	s_and_not1_b32 exec_lo, exec_lo, s38
	s_cbranch_execz .LBB16_2
.LBB16_10:                              ;   Parent Loop BB16_3 Depth=1
                                        ; =>  This Loop Header: Depth=2
                                        ;       Child Loop BB16_17 Depth 3
                                        ;         Child Loop BB16_20 Depth 4
                                        ;           Child Loop BB16_22 Depth 5
	s_delay_alu instid0(VALU_DEP_1) | instskip(NEXT) | instid1(VALU_DEP_1)
	v_dual_add_nc_u32 v0, 1, v6 :: v_dual_mov_b32 v10, v1
	v_mad_nc_u64_u32 v[8:9], v0, s18, -1
	s_delay_alu instid0(VALU_DEP_1) | instskip(NEXT) | instid1(VALU_DEP_1)
	v_mad_u32 v9, v0, s19, v9
	v_or_b32_e32 v11, s21, v9
	s_delay_alu instid0(VALU_DEP_1) | instskip(SKIP_1) | instid1(SALU_CYCLE_1)
	v_cmp_ne_u64_e32 vcc_lo, 0, v[10:11]
                                        ; implicit-def: $vgpr10_vgpr11
	s_and_saveexec_b32 s2, vcc_lo
	s_xor_b32 s3, exec_lo, s2
	s_cbranch_execnz .LBB16_13
; %bb.11:                               ;   in Loop: Header=BB16_10 Depth=2
	s_and_not1_saveexec_b32 s2, s3
	s_cbranch_execnz .LBB16_14
.LBB16_12:                              ;   in Loop: Header=BB16_10 Depth=2
	s_or_b32 exec_lo, exec_lo, s2
	v_mov_b32_e32 v7, v1
	s_and_saveexec_b32 s5, s1
	s_cbranch_execz .LBB16_9
	s_branch .LBB16_15
.LBB16_13:                              ;   in Loop: Header=BB16_10 Depth=2
	s_mov_b32 s31, s30
	v_dual_mov_b32 v21, v1 :: v_dual_ashrrev_i32 v10, 31, v9
	s_add_nc_u64 s[4:5], s[20:21], s[30:31]
	s_delay_alu instid0(SALU_CYCLE_1) | instskip(NEXT) | instid1(VALU_DEP_1)
	s_xor_b64 s[4:5], s[4:5], s[30:31]
	v_mov_b32_e32 v11, v10
	s_cvt_f32_u32 s2, s4
	s_cvt_f32_u32 s12, s5
	s_sub_nc_u64 s[42:43], 0, s[4:5]
	s_delay_alu instid0(VALU_DEP_1) | instskip(NEXT) | instid1(SALU_CYCLE_1)
	v_add_nc_u64_e32 v[8:9], v[8:9], v[10:11]
	s_fmamk_f32 s2, s12, 0x4f800000, s2
	s_delay_alu instid0(SALU_CYCLE_3) | instskip(NEXT) | instid1(VALU_DEP_1)
	v_s_rcp_f32 s2, s2
	v_xor_b32_e32 v0, v8, v10
	s_delay_alu instid0(VALU_DEP_2) | instskip(SKIP_1) | instid1(TRANS32_DEP_1)
	v_xor_b32_e32 v20, v9, v10
	v_dual_mov_b32 v25, v1 :: v_dual_bitop2_b32 v10, s30, v10 bitop3:0x14
	s_mul_f32 s2, s2, 0x5f7ffffc
	s_delay_alu instid0(SALU_CYCLE_3) | instskip(NEXT) | instid1(SALU_CYCLE_3)
	s_mul_f32 s12, s2, 0x2f800000
	s_trunc_f32 s12, s12
	s_delay_alu instid0(SALU_CYCLE_3) | instskip(SKIP_1) | instid1(SALU_CYCLE_2)
	s_fmamk_f32 s2, s12, 0xcf800000, s2
	s_cvt_u32_f32 s41, s12
	s_cvt_u32_f32 s40, s2
	s_delay_alu instid0(SALU_CYCLE_3) | instskip(NEXT) | instid1(SALU_CYCLE_1)
	s_mul_u64 s[44:45], s[42:43], s[40:41]
	s_mul_hi_u32 s47, s40, s45
	s_mul_i32 s46, s40, s45
	s_mul_hi_u32 s12, s40, s44
	s_mul_i32 s31, s41, s44
	s_add_nc_u64 s[46:47], s[12:13], s[46:47]
	s_mul_hi_u32 s2, s41, s44
	s_mul_hi_u32 s39, s41, s45
	s_add_co_u32 s12, s46, s31
	s_add_co_ci_u32 s12, s47, s2
	s_mul_i32 s44, s41, s45
	s_add_co_ci_u32 s45, s39, 0
	s_delay_alu instid0(SALU_CYCLE_1) | instskip(NEXT) | instid1(SALU_CYCLE_1)
	s_add_nc_u64 s[44:45], s[12:13], s[44:45]
	s_add_co_u32 s40, s40, s44
	s_cselect_b32 s2, -1, 0
	s_delay_alu instid0(SALU_CYCLE_1) | instskip(SKIP_1) | instid1(SALU_CYCLE_1)
	s_cmp_lg_u32 s2, 0
	s_add_co_ci_u32 s41, s41, s45
	s_mul_u64 s[42:43], s[42:43], s[40:41]
	s_delay_alu instid0(SALU_CYCLE_1)
	s_mul_hi_u32 s45, s40, s43
	s_mul_i32 s44, s40, s43
	s_mul_hi_u32 s12, s40, s42
	s_mul_i32 s31, s41, s42
	s_add_nc_u64 s[44:45], s[12:13], s[44:45]
	s_mul_hi_u32 s2, s41, s42
	s_mul_hi_u32 s39, s41, s43
	s_add_co_u32 s12, s44, s31
	s_add_co_ci_u32 s12, s45, s2
	s_mul_i32 s42, s41, s43
	s_add_co_ci_u32 s43, s39, 0
	s_delay_alu instid0(SALU_CYCLE_1) | instskip(NEXT) | instid1(SALU_CYCLE_1)
	s_add_nc_u64 s[42:43], s[12:13], s[42:43]
	s_add_co_u32 s2, s40, s42
	s_cselect_b32 s12, -1, 0
	v_mul_hi_u32 v24, v0, s2
	s_cmp_lg_u32 s12, 0
	s_add_co_ci_u32 s12, s41, s43
	s_and_b64 s[40:41], s[2:3], s[26:27]
	v_mul_u64_e32 v[12:13], s[12:13], v[0:1]
	v_mul_u64_e32 v[8:9], s[40:41], v[20:21]
	;; [unrolled: 1-line block ×3, first 2 shown]
	s_delay_alu instid0(VALU_DEP_3) | instskip(NEXT) | instid1(VALU_DEP_1)
	v_add_nc_u64_e32 v[12:13], v[24:25], v[12:13]
	v_add_co_u32 v7, vcc_lo, v12, v8
	s_delay_alu instid0(VALU_DEP_2) | instskip(NEXT) | instid1(VALU_DEP_4)
	v_add_co_ci_u32_e32 v24, vcc_lo, v13, v9, vcc_lo
	v_add_co_ci_u32_e32 v23, vcc_lo, 0, v23, vcc_lo
	s_delay_alu instid0(VALU_DEP_1) | instskip(NEXT) | instid1(VALU_DEP_1)
	v_add_nc_u64_e32 v[8:9], v[24:25], v[22:23]
	v_mul_u64_e32 v[12:13], s[4:5], v[8:9]
	s_delay_alu instid0(VALU_DEP_1) | instskip(NEXT) | instid1(VALU_DEP_2)
	v_sub_nc_u32_e32 v7, v20, v13
	v_sub_co_u32 v0, vcc_lo, v0, v12
	s_delay_alu instid0(VALU_DEP_1) | instskip(NEXT) | instid1(VALU_DEP_3)
	v_sub_co_ci_u32_e64 v19, null, v20, v13, vcc_lo
	v_subrev_co_ci_u32_e64 v7, null, s5, v7, vcc_lo
	s_delay_alu instid0(VALU_DEP_3) | instskip(SKIP_1) | instid1(VALU_DEP_3)
	v_sub_co_u32 v11, s2, v0, s4
	v_add_nc_u64_e32 v[20:21], 1, v[8:9]
	v_subrev_co_ci_u32_e64 v7, null, 0, v7, s2
	s_delay_alu instid0(VALU_DEP_3) | instskip(SKIP_1) | instid1(VALU_DEP_3)
	v_cmp_le_u32_e32 vcc_lo, s4, v11
	v_cndmask_b32_e64 v11, 0, -1, vcc_lo
	v_cmp_le_u32_e32 vcc_lo, s5, v7
	v_cndmask_b32_e64 v12, 0, -1, vcc_lo
	;; [unrolled: 2-line block ×4, first 2 shown]
	v_cmp_eq_u32_e32 vcc_lo, s5, v7
	v_cndmask_b32_e32 v7, v12, v11, vcc_lo
	v_cmp_eq_u32_e32 vcc_lo, s5, v19
	v_add_nc_u64_e32 v[12:13], 2, v[8:9]
	v_cndmask_b32_e32 v0, v22, v0, vcc_lo
	s_delay_alu instid0(VALU_DEP_4) | instskip(NEXT) | instid1(VALU_DEP_3)
	v_cmp_ne_u32_e32 vcc_lo, 0, v7
	v_cndmask_b32_e32 v7, v21, v13, vcc_lo
	s_delay_alu instid0(VALU_DEP_3) | instskip(NEXT) | instid1(VALU_DEP_1)
	v_cmp_ne_u32_e64 s2, 0, v0
	v_dual_cndmask_b32 v0, v20, v12, vcc_lo :: v_dual_cndmask_b32 v7, v9, v7, s2
	s_delay_alu instid0(VALU_DEP_1) | instskip(NEXT) | instid1(VALU_DEP_2)
	v_dual_cndmask_b32 v0, v8, v0, s2 :: v_dual_mov_b32 v11, v10
	v_xor_b32_e32 v9, v7, v10
	s_delay_alu instid0(VALU_DEP_2) | instskip(NEXT) | instid1(VALU_DEP_1)
	v_xor_b32_e32 v8, v0, v10
	v_sub_nc_u64_e32 v[10:11], v[8:9], v[10:11]
                                        ; implicit-def: $vgpr8_vgpr9
	s_and_not1_saveexec_b32 s2, s3
	s_cbranch_execz .LBB16_12
.LBB16_14:                              ;   in Loop: Header=BB16_10 Depth=2
	v_cvt_f32_u32_e32 v0, s20
	s_sub_co_i32 s3, 0, s20
	s_delay_alu instid0(VALU_DEP_1) | instskip(SKIP_1) | instid1(TRANS32_DEP_1)
	v_rcp_iflag_f32_e32 v0, v0
	v_nop
	v_mul_f32_e32 v0, 0x4f7ffffe, v0
	s_delay_alu instid0(VALU_DEP_1) | instskip(NEXT) | instid1(VALU_DEP_1)
	v_cvt_u32_f32_e32 v0, v0
	v_mul_lo_u32 v7, s3, v0
	s_delay_alu instid0(VALU_DEP_1) | instskip(NEXT) | instid1(VALU_DEP_1)
	v_mul_hi_u32 v7, v0, v7
	v_add_nc_u32_e32 v0, v0, v7
	s_delay_alu instid0(VALU_DEP_1) | instskip(NEXT) | instid1(VALU_DEP_1)
	v_mul_hi_u32 v0, v8, v0
	v_mul_lo_u32 v7, v0, s20
	s_delay_alu instid0(VALU_DEP_1) | instskip(NEXT) | instid1(VALU_DEP_1)
	v_dual_sub_nc_u32 v7, v8, v7 :: v_dual_add_nc_u32 v8, 1, v0
	v_subrev_nc_u32_e32 v9, s20, v7
	v_cmp_le_u32_e32 vcc_lo, s20, v7
	s_delay_alu instid0(VALU_DEP_2) | instskip(NEXT) | instid1(VALU_DEP_1)
	v_dual_cndmask_b32 v7, v7, v9 :: v_dual_cndmask_b32 v0, v0, v8
	v_cmp_le_u32_e32 vcc_lo, s20, v7
	s_delay_alu instid0(VALU_DEP_2) | instskip(NEXT) | instid1(VALU_DEP_1)
	v_add_nc_u32_e32 v8, 1, v0
	v_cndmask_b32_e32 v10, v0, v8, vcc_lo
	s_or_b32 exec_lo, exec_lo, s2
	v_mov_b32_e32 v7, v1
	s_and_saveexec_b32 s5, s1
	s_cbranch_execz .LBB16_9
.LBB16_15:                              ;   in Loop: Header=BB16_10 Depth=2
	s_delay_alu instid0(VALU_DEP_1)
	v_lshl_add_u64 v[8:9], v[6:7], 1, v[2:3]
	v_mul_lo_u32 v19, v6, s9
	s_mov_b32 s31, 0
	s_mov_b32 s39, 0
	global_load_u16 v11, v[8:9], off
	s_wait_xcnt 0x0
	v_mul_u64_e32 v[8:9], s[24:25], v[6:7]
	v_sub_nc_u32_e32 v0, 0, v19
	s_delay_alu instid0(VALU_DEP_2) | instskip(NEXT) | instid1(VALU_DEP_1)
	v_mul_lo_u32 v7, v9, s34
	v_dual_sub_nc_u32 v7, v6, v7 :: v_dual_max_i32 v0, v19, v0
	s_delay_alu instid0(VALU_DEP_1) | instskip(SKIP_1) | instid1(VALU_DEP_3)
	v_mul_u64_e32 v[12:13], s[24:25], v[0:1]
	v_add_nc_u32_e32 v12, 1, v9
	v_cmp_le_u32_e32 vcc_lo, s34, v7
	s_delay_alu instid0(VALU_DEP_2) | instskip(SKIP_2) | instid1(VALU_DEP_1)
	v_cndmask_b32_e32 v9, v9, v12, vcc_lo
	v_subrev_nc_u32_e32 v12, s34, v7
	v_mul_lo_u32 v8, v13, s34
	v_dual_sub_nc_u32 v0, v0, v8 :: v_dual_add_nc_u32 v8, 1, v13
	s_delay_alu instid0(VALU_DEP_1) | instskip(SKIP_1) | instid1(VALU_DEP_2)
	v_cmp_le_u32_e64 s2, s34, v0
	v_subrev_nc_u32_e32 v20, s34, v0
	v_dual_cndmask_b32 v8, v13, v8, s2 :: v_dual_ashrrev_i32 v13, 31, v19
	v_dual_cndmask_b32 v7, v7, v12 :: v_dual_add_nc_u32 v12, 1, v9
	s_delay_alu instid0(VALU_DEP_2) | instskip(NEXT) | instid1(VALU_DEP_2)
	v_xor_b32_e32 v13, s21, v13
	v_cmp_le_u32_e32 vcc_lo, s34, v7
	s_delay_alu instid0(VALU_DEP_4) | instskip(NEXT) | instid1(VALU_DEP_4)
	v_add_nc_u32_e32 v19, 1, v8
	v_cndmask_b32_e32 v7, v9, v12, vcc_lo
	s_delay_alu instid0(VALU_DEP_1) | instskip(NEXT) | instid1(VALU_DEP_1)
	v_dual_cndmask_b32 v0, v0, v20, s2 :: v_dual_bitop2_b32 v7, s21, v7 bitop3:0x14
	v_cmp_le_u32_e32 vcc_lo, s34, v0
	s_delay_alu instid0(VALU_DEP_2) | instskip(SKIP_1) | instid1(VALU_DEP_1)
	v_subrev_nc_u32_e32 v7, s21, v7
	v_cndmask_b32_e32 v0, v8, v19, vcc_lo
	v_xor_b32_e32 v0, v0, v13
	s_delay_alu instid0(VALU_DEP_1) | instskip(NEXT) | instid1(VALU_DEP_1)
	v_sub_nc_u32_e32 v0, v0, v13
	v_mad_u32 v8, v7, s9, v0
	s_delay_alu instid0(VALU_DEP_1) | instskip(NEXT) | instid1(VALU_DEP_1)
	v_sub_nc_u32_e32 v7, v10, v8
	v_cmp_gt_u32_e32 vcc_lo, 0x7fffffff, v7
	s_wait_loadcnt 0x0
	v_cvt_f32_f16_e32 v10, v11
	v_add_nc_u32_e32 v0, 1, v7
	s_delay_alu instid0(VALU_DEP_1) | instskip(NEXT) | instid1(VALU_DEP_1)
	v_cvt_f32_i32_e32 v0, v0
	v_cvt_f16_f32_e32 v0, v0
	s_delay_alu instid0(VALU_DEP_1) | instskip(NEXT) | instid1(VALU_DEP_1)
	v_cvt_f32_f16_e32 v9, v0
	v_rcp_f32_e32 v9, v9
	v_nop
	s_delay_alu instid0(TRANS32_DEP_1) | instskip(NEXT) | instid1(VALU_DEP_1)
	v_mul_f32_e32 v10, v10, v9
	v_fma_mix_f32 v12, -v0, v10, v11 op_sel_hi:[1,0,1]
	s_delay_alu instid0(VALU_DEP_1) | instskip(NEXT) | instid1(VALU_DEP_1)
	v_fmac_f32_e32 v10, v12, v9
	v_fma_mix_f32 v12, -v0, v10, v11 op_sel_hi:[1,0,1]
	s_delay_alu instid0(VALU_DEP_1) | instskip(NEXT) | instid1(VALU_DEP_1)
	v_mul_f32_e32 v9, v12, v9
	v_and_b32_e32 v9, 0xff800000, v9
	s_delay_alu instid0(VALU_DEP_1) | instskip(SKIP_1) | instid1(VALU_DEP_2)
	v_add_f32_e32 v9, v9, v10
	v_cvt_f32_f16_e32 v10, v18
	v_cvt_f16_f32_e32 v9, v9
	s_delay_alu instid0(VALU_DEP_1) | instskip(NEXT) | instid1(VALU_DEP_3)
	v_div_fixup_f16 v0, v9, v0, v11
	v_rcp_f32_e32 v9, v10
	v_nop
	s_delay_alu instid0(VALU_DEP_2)
	v_cvt_f32_f16_e32 v10, v0
	s_delay_alu instid0(TRANS32_DEP_1) | instid1(VALU_DEP_1)
	v_mul_f32_e32 v10, v10, v9
	s_delay_alu instid0(VALU_DEP_1) | instskip(NEXT) | instid1(VALU_DEP_1)
	v_fma_mix_f32 v11, -v18, v10, v0 op_sel_hi:[1,0,1]
	v_fmac_f32_e32 v10, v11, v9
	s_delay_alu instid0(VALU_DEP_1) | instskip(NEXT) | instid1(VALU_DEP_1)
	v_fma_mix_f32 v11, -v18, v10, v0 op_sel_hi:[1,0,1]
	v_mul_f32_e32 v9, v11, v9
	s_delay_alu instid0(VALU_DEP_1) | instskip(NEXT) | instid1(VALU_DEP_1)
	v_and_b32_e32 v9, 0xff800000, v9
	v_dual_add_f32 v10, v9, v10 :: v_dual_ashrrev_i32 v9, 31, v8
	s_delay_alu instid0(VALU_DEP_1) | instskip(NEXT) | instid1(VALU_DEP_2)
	v_cvt_f16_f32_e32 v10, v10
	v_lshl_add_u64 v[8:9], v[8:9], 1, v[4:5]
	s_delay_alu instid0(VALU_DEP_2)
	v_div_fixup_f16 v19, v10, v18, v0
	s_branch .LBB16_17
.LBB16_16:                              ;   in Loop: Header=BB16_17 Depth=3
	s_or_b32 exec_lo, exec_lo, s40
	v_cmp_eq_u32_e64 s2, s39, v17
	v_lshl_add_u64 v[8:9], s[18:19], 1, v[8:9]
	s_add_co_i32 s39, s39, 1
	s_or_b32 s31, s2, s31
	s_delay_alu instid0(SALU_CYCLE_1)
	s_and_not1_b32 exec_lo, exec_lo, s31
	s_cbranch_execz .LBB16_9
.LBB16_17:                              ;   Parent Loop BB16_3 Depth=1
                                        ;     Parent Loop BB16_10 Depth=2
                                        ; =>    This Loop Header: Depth=3
                                        ;         Child Loop BB16_20 Depth 4
                                        ;           Child Loop BB16_22 Depth 5
	s_and_saveexec_b32 s40, vcc_lo
	s_cbranch_execz .LBB16_16
; %bb.18:                               ;   in Loop: Header=BB16_17 Depth=3
	s_mov_b32 s41, 0
	s_delay_alu instid0(SALU_CYCLE_1)
	s_mov_b32 s12, s41
	s_branch .LBB16_20
.LBB16_19:                              ;   in Loop: Header=BB16_20 Depth=4
	s_or_b32 exec_lo, exec_lo, s42
	v_cmp_eq_u32_e64 s2, s12, v7
	s_add_co_i32 s12, s12, 1
	s_or_b32 s41, s2, s41
	s_delay_alu instid0(SALU_CYCLE_1)
	s_and_not1_b32 exec_lo, exec_lo, s41
	s_cbranch_execz .LBB16_16
.LBB16_20:                              ;   Parent Loop BB16_3 Depth=1
                                        ;     Parent Loop BB16_10 Depth=2
                                        ;       Parent Loop BB16_17 Depth=3
                                        ; =>      This Loop Header: Depth=4
                                        ;           Child Loop BB16_22 Depth 5
	v_lshl_add_u64 v[10:11], s[12:13], 1, v[8:9]
	s_mov_b32 s42, 0
	s_delay_alu instid0(VALU_DEP_1) | instskip(NEXT) | instid1(VALU_DEP_1)
	v_and_b32_e32 v0, 2, v10
	v_sub_nc_u64_e32 v[12:13], 0, v[0:1]
	v_cmp_eq_u64_e64 s2, 0, v[0:1]
	v_cmp_ne_u32_e64 s3, 0, v0
	s_delay_alu instid0(VALU_DEP_3)
	v_add_nc_u64_e32 v[10:11], v[10:11], v[12:13]
	global_load_b32 v13, v[10:11], off
	s_branch .LBB16_22
.LBB16_21:                              ;   in Loop: Header=BB16_22 Depth=5
	s_or_b32 exec_lo, exec_lo, s4
	global_atomic_cmpswap_b32 v0, v[10:11], v[12:13], off th:TH_ATOMIC_RETURN scope:SCOPE_DEV
	s_wait_loadcnt 0x0
	v_cmp_eq_u32_e64 s4, v13, v0
	v_mov_b32_e32 v13, v0
	s_or_b32 s42, s4, s42
	s_delay_alu instid0(SALU_CYCLE_1)
	s_and_not1_b32 exec_lo, exec_lo, s42
	s_cbranch_execz .LBB16_19
.LBB16_22:                              ;   Parent Loop BB16_3 Depth=1
                                        ;     Parent Loop BB16_10 Depth=2
                                        ;       Parent Loop BB16_17 Depth=3
                                        ;         Parent Loop BB16_20 Depth=4
                                        ; =>        This Inner Loop Header: Depth=5
	s_wait_loadcnt 0x0
	v_lshrrev_b32_e32 v0, 16, v13
	s_delay_alu instid0(VALU_DEP_1) | instskip(NEXT) | instid1(VALU_DEP_1)
	v_cndmask_b32_e64 v0, v0, v13, s2
	v_add_f16_e32 v0, v19, v0
	s_delay_alu instid0(VALU_DEP_1) | instskip(SKIP_1) | instid1(SALU_CYCLE_1)
	v_and_b32_e32 v0, 0xffff, v0
	s_and_saveexec_b32 s4, s3
	s_xor_b32 s4, exec_lo, s4
; %bb.23:                               ;   in Loop: Header=BB16_22 Depth=5
	v_and_b32_e32 v12, 0xffff, v13
	s_delay_alu instid0(VALU_DEP_1)
	v_lshl_or_b32 v12, v0, 16, v12
                                        ; implicit-def: $vgpr0
; %bb.24:                               ;   in Loop: Header=BB16_22 Depth=5
	s_and_not1_saveexec_b32 s4, s4
	s_cbranch_execz .LBB16_21
; %bb.25:                               ;   in Loop: Header=BB16_22 Depth=5
	v_and_or_b32 v12, 0xffff0000, v13, v0
	s_branch .LBB16_21
.LBB16_26:
	s_endpgm
	.section	.rodata,"a",@progbits
	.p2align	6, 0x0
	.amdhsa_kernel _ZN2at6native12_GLOBAL__N_133atomic_adaptive_average_gradinputIN3c104HalfEEEvPT_PKS5_iiii
		.amdhsa_group_segment_fixed_size 0
		.amdhsa_private_segment_fixed_size 0
		.amdhsa_kernarg_size 288
		.amdhsa_user_sgpr_count 2
		.amdhsa_user_sgpr_dispatch_ptr 0
		.amdhsa_user_sgpr_queue_ptr 0
		.amdhsa_user_sgpr_kernarg_segment_ptr 1
		.amdhsa_user_sgpr_dispatch_id 0
		.amdhsa_user_sgpr_kernarg_preload_length 0
		.amdhsa_user_sgpr_kernarg_preload_offset 0
		.amdhsa_user_sgpr_private_segment_size 0
		.amdhsa_wavefront_size32 1
		.amdhsa_uses_dynamic_stack 0
		.amdhsa_enable_private_segment 0
		.amdhsa_system_sgpr_workgroup_id_x 1
		.amdhsa_system_sgpr_workgroup_id_y 1
		.amdhsa_system_sgpr_workgroup_id_z 0
		.amdhsa_system_sgpr_workgroup_info 0
		.amdhsa_system_vgpr_workitem_id 1
		.amdhsa_next_free_vgpr 26
		.amdhsa_next_free_sgpr 48
		.amdhsa_named_barrier_count 0
		.amdhsa_reserve_vcc 1
		.amdhsa_float_round_mode_32 0
		.amdhsa_float_round_mode_16_64 0
		.amdhsa_float_denorm_mode_32 3
		.amdhsa_float_denorm_mode_16_64 3
		.amdhsa_fp16_overflow 0
		.amdhsa_memory_ordered 1
		.amdhsa_forward_progress 1
		.amdhsa_inst_pref_size 25
		.amdhsa_round_robin_scheduling 0
		.amdhsa_exception_fp_ieee_invalid_op 0
		.amdhsa_exception_fp_denorm_src 0
		.amdhsa_exception_fp_ieee_div_zero 0
		.amdhsa_exception_fp_ieee_overflow 0
		.amdhsa_exception_fp_ieee_underflow 0
		.amdhsa_exception_fp_ieee_inexact 0
		.amdhsa_exception_int_div_zero 0
	.end_amdhsa_kernel
	.section	.text._ZN2at6native12_GLOBAL__N_133atomic_adaptive_average_gradinputIN3c104HalfEEEvPT_PKS5_iiii,"axG",@progbits,_ZN2at6native12_GLOBAL__N_133atomic_adaptive_average_gradinputIN3c104HalfEEEvPT_PKS5_iiii,comdat
.Lfunc_end16:
	.size	_ZN2at6native12_GLOBAL__N_133atomic_adaptive_average_gradinputIN3c104HalfEEEvPT_PKS5_iiii, .Lfunc_end16-_ZN2at6native12_GLOBAL__N_133atomic_adaptive_average_gradinputIN3c104HalfEEEvPT_PKS5_iiii
                                        ; -- End function
	.set _ZN2at6native12_GLOBAL__N_133atomic_adaptive_average_gradinputIN3c104HalfEEEvPT_PKS5_iiii.num_vgpr, 26
	.set _ZN2at6native12_GLOBAL__N_133atomic_adaptive_average_gradinputIN3c104HalfEEEvPT_PKS5_iiii.num_agpr, 0
	.set _ZN2at6native12_GLOBAL__N_133atomic_adaptive_average_gradinputIN3c104HalfEEEvPT_PKS5_iiii.numbered_sgpr, 48
	.set _ZN2at6native12_GLOBAL__N_133atomic_adaptive_average_gradinputIN3c104HalfEEEvPT_PKS5_iiii.num_named_barrier, 0
	.set _ZN2at6native12_GLOBAL__N_133atomic_adaptive_average_gradinputIN3c104HalfEEEvPT_PKS5_iiii.private_seg_size, 0
	.set _ZN2at6native12_GLOBAL__N_133atomic_adaptive_average_gradinputIN3c104HalfEEEvPT_PKS5_iiii.uses_vcc, 1
	.set _ZN2at6native12_GLOBAL__N_133atomic_adaptive_average_gradinputIN3c104HalfEEEvPT_PKS5_iiii.uses_flat_scratch, 0
	.set _ZN2at6native12_GLOBAL__N_133atomic_adaptive_average_gradinputIN3c104HalfEEEvPT_PKS5_iiii.has_dyn_sized_stack, 0
	.set _ZN2at6native12_GLOBAL__N_133atomic_adaptive_average_gradinputIN3c104HalfEEEvPT_PKS5_iiii.has_recursion, 0
	.set _ZN2at6native12_GLOBAL__N_133atomic_adaptive_average_gradinputIN3c104HalfEEEvPT_PKS5_iiii.has_indirect_call, 0
	.section	.AMDGPU.csdata,"",@progbits
; Kernel info:
; codeLenInByte = 3128
; TotalNumSgprs: 50
; NumVgprs: 26
; ScratchSize: 0
; MemoryBound: 0
; FloatMode: 240
; IeeeMode: 1
; LDSByteSize: 0 bytes/workgroup (compile time only)
; SGPRBlocks: 0
; VGPRBlocks: 1
; NumSGPRsForWavesPerEU: 50
; NumVGPRsForWavesPerEU: 26
; NamedBarCnt: 0
; Occupancy: 16
; WaveLimiterHint : 0
; COMPUTE_PGM_RSRC2:SCRATCH_EN: 0
; COMPUTE_PGM_RSRC2:USER_SGPR: 2
; COMPUTE_PGM_RSRC2:TRAP_HANDLER: 0
; COMPUTE_PGM_RSRC2:TGID_X_EN: 1
; COMPUTE_PGM_RSRC2:TGID_Y_EN: 1
; COMPUTE_PGM_RSRC2:TGID_Z_EN: 0
; COMPUTE_PGM_RSRC2:TIDIG_COMP_CNT: 1
	.section	.text._ZN2at6native12_GLOBAL__N_126adaptive_average_gradinputIN3c104HalfEEEvPT_PKS5_iiii,"axG",@progbits,_ZN2at6native12_GLOBAL__N_126adaptive_average_gradinputIN3c104HalfEEEvPT_PKS5_iiii,comdat
	.globl	_ZN2at6native12_GLOBAL__N_126adaptive_average_gradinputIN3c104HalfEEEvPT_PKS5_iiii ; -- Begin function _ZN2at6native12_GLOBAL__N_126adaptive_average_gradinputIN3c104HalfEEEvPT_PKS5_iiii
	.p2align	8
	.type	_ZN2at6native12_GLOBAL__N_126adaptive_average_gradinputIN3c104HalfEEEvPT_PKS5_iiii,@function
_ZN2at6native12_GLOBAL__N_126adaptive_average_gradinputIN3c104HalfEEEvPT_PKS5_iiii: ; @_ZN2at6native12_GLOBAL__N_126adaptive_average_gradinputIN3c104HalfEEEvPT_PKS5_iiii
; %bb.0:
	s_clause 0x1
	s_load_b32 s8, s[0:1], 0x2c
	s_load_b128 s[4:7], s[0:1], 0x10
	s_bfe_u32 s2, ttmp6, 0x40010
	s_bfe_u32 s3, ttmp6, 0x40004
	s_add_co_i32 s2, s2, 1
	s_getreg_b32 s10, hwreg(HW_REG_IB_STS2, 6, 4)
	s_mul_i32 s2, ttmp7, s2
	v_bfe_u32 v1, v0, 10, 10
	s_add_co_i32 s3, s3, s2
	s_mov_b32 s9, 0
	s_wait_kmcnt 0x0
	s_lshr_b32 s14, s8, 16
	s_cmp_eq_u32 s10, 0
	s_cselect_b32 s2, ttmp7, s3
	s_delay_alu instid0(SALU_CYCLE_1) | instskip(SKIP_1) | instid1(VALU_DEP_1)
	v_mad_u32 v12, s2, s14, v1
	s_mov_b32 s2, exec_lo
	v_cmpx_gt_i32_e64 s4, v12
	s_cbranch_execz .LBB17_28
; %bb.1:
	s_add_nc_u64 s[12:13], s[0:1], 32
	s_load_b128 s[0:3], s[0:1], 0x0
	s_bfe_u32 s11, ttmp6, 0x4000c
	s_load_b32 s40, s[12:13], 0x4
	s_add_co_i32 s11, s11, 1
	s_wait_xcnt 0x0
	s_and_b32 s12, ttmp6, 15
	s_mul_i32 s11, ttmp9, s11
	v_and_b32_e32 v13, 0x3ff, v0
	s_add_co_i32 s12, s12, s11
	s_cmp_eq_u32 s10, 0
	s_mov_b32 s16, s4
	s_cselect_b32 s10, ttmp9, s12
	s_abs_i32 s33, s4
	s_mul_i32 s12, s4, s10
	s_cvt_f32_u32 s15, s33
	s_mul_i32 s12, s12, s5
	s_abs_i32 s41, s5
	s_ashr_i32 s13, s12, 31
	s_mul_i32 s11, s6, s10
	s_lshl_b64 s[12:13], s[12:13], 1
	v_rcp_iflag_f32_e32 v0, s15
	s_wait_kmcnt 0x0
	s_add_nc_u64 s[12:13], s[0:1], s[12:13]
	s_cvt_f32_u32 s0, s41
	s_mul_i32 s10, s11, s7
	s_abs_i32 s43, s6
	s_ashr_i32 s11, s10, 31
	v_rcp_iflag_f32_e32 v1, s0
	s_lshl_b64 s[10:11], s[10:11], 1
	v_readfirstlane_b32 s1, v0
	s_add_nc_u64 s[10:11], s[2:3], s[10:11]
	s_cvt_f32_u32 s3, s43
	s_abs_i32 s44, s7
	s_and_b32 s42, s8, 0xffff
	v_readfirstlane_b32 s2, v1
	s_mul_f32 s1, s1, 0x4f7ffffe
	v_rcp_iflag_f32_e32 v0, s3
	s_cvt_f32_u32 s8, s44
	s_sub_co_i32 s3, 0, s33
	s_cvt_u32_f32 s1, s1
	s_mul_f32 s2, s2, 0x4f7ffffe
	v_rcp_iflag_f32_e32 v1, s8
	s_sub_co_i32 s22, 0, s41
	v_nop
	v_readfirstlane_b32 s8, v0
	s_mul_i32 s3, s3, s1
	s_cvt_u32_f32 s2, s2
	v_cvt_f32_u32_e32 v0, s16
	s_mul_hi_u32 s3, s1, s3
	v_cmp_gt_i32_e64 s0, s5, v13
	s_mul_i32 s23, s22, s2
	s_add_co_i32 s22, s1, s3
	s_mul_f32 s3, s8, 0x4f7ffffe
	v_readfirstlane_b32 s8, v1
	v_rcp_iflag_f32_e32 v0, v0
	s_mul_hi_u32 s1, s2, s23
	s_ashr_i32 s17, s4, 31
	s_add_co_i32 s24, s2, s1
	s_cvt_u32_f32 s1, s3
	s_mul_f32 s3, s8, 0x4f7ffffe
	s_sub_co_i32 s2, 0, s43
	v_nop
	v_dual_mul_f32 v1, 0x4f7ffffe, v0 :: v_dual_mov_b32 v0, 0
	s_cvt_u32_f32 s3, s3
	s_mul_i32 s2, s2, s1
	s_sub_co_i32 s8, 0, s44
	s_mul_hi_u32 s2, s1, s2
	s_mul_i32 s8, s8, s3
	v_cvt_u32_f32_e32 v14, v1
	s_add_co_i32 s26, s1, s2
	s_mul_hi_u32 s1, s3, s8
	s_mul_i32 s40, s40, s14
	s_ashr_i32 s15, s6, 31
	s_mov_b32 s14, s6
	s_ashr_i32 s19, s7, 31
	s_mov_b32 s18, s7
	;; [unrolled: 2-line block ×3, first 2 shown]
	s_mov_b32 s23, s9
	s_mov_b32 s25, s9
	;; [unrolled: 1-line block ×3, first 2 shown]
	s_add_co_i32 s28, s3, s1
	s_mov_b32 s29, s9
	s_mov_b64 s[30:31], 0xffffffff
	s_sub_co_i32 s45, 0, s7
	s_ashr_i32 s34, s17, 31
	s_mov_b32 s46, 0
	s_branch .LBB17_3
.LBB17_2:                               ;   in Loop: Header=BB17_3 Depth=1
	s_or_b32 exec_lo, exec_lo, s35
	v_add_nc_u32_e32 v12, s40, v12
	s_delay_alu instid0(VALU_DEP_1) | instskip(SKIP_1) | instid1(SALU_CYCLE_1)
	v_cmp_le_i32_e32 vcc_lo, s4, v12
	s_or_b32 s46, vcc_lo, s46
	s_and_not1_b32 exec_lo, exec_lo, s46
	s_cbranch_execz .LBB17_28
.LBB17_3:                               ; =>This Loop Header: Depth=1
                                        ;     Child Loop BB17_10 Depth 2
                                        ;       Child Loop BB17_17 Depth 3
                                        ;         Child Loop BB17_24 Depth 4
	v_add_nc_u32_e32 v1, 1, v12
                                        ; implicit-def: $vgpr4_vgpr5
	s_mov_b32 s1, exec_lo
	s_delay_alu instid0(VALU_DEP_1) | instskip(NEXT) | instid1(VALU_DEP_1)
	v_mad_nc_i64_i32 v[2:3], v1, s14, -1
	v_or_b32_e32 v1, s17, v3
	s_delay_alu instid0(VALU_DEP_1)
	v_cmpx_ne_u64_e32 0, v[0:1]
	s_xor_b32 s36, exec_lo, s1
	s_cbranch_execnz .LBB17_6
; %bb.4:                                ;   in Loop: Header=BB17_3 Depth=1
	s_and_not1_saveexec_b32 s1, s36
	s_cbranch_execnz .LBB17_7
.LBB17_5:                               ;   in Loop: Header=BB17_3 Depth=1
	s_or_b32 exec_lo, exec_lo, s1
	s_and_saveexec_b32 s35, s0
	s_cbranch_execz .LBB17_2
	s_branch .LBB17_8
.LBB17_6:                               ;   in Loop: Header=BB17_3 Depth=1
	s_mov_b32 s35, s34
	v_dual_mov_b32 v7, v0 :: v_dual_ashrrev_i32 v4, 31, v3
	s_add_nc_u64 s[2:3], s[16:17], s[34:35]
	s_delay_alu instid0(SALU_CYCLE_1) | instskip(NEXT) | instid1(VALU_DEP_1)
	s_xor_b64 s[2:3], s[2:3], s[34:35]
	v_mov_b32_e32 v5, v4
	s_cvt_f32_u32 s1, s2
	s_cvt_f32_u32 s8, s3
	s_sub_nc_u64 s[48:49], 0, s[2:3]
	s_delay_alu instid0(VALU_DEP_1) | instskip(NEXT) | instid1(SALU_CYCLE_1)
	v_add_nc_u64_e32 v[2:3], v[2:3], v[4:5]
	s_fmamk_f32 s1, s8, 0x4f800000, s1
	v_mov_b32_e32 v11, v0
	s_delay_alu instid0(SALU_CYCLE_2) | instskip(NEXT) | instid1(VALU_DEP_2)
	v_s_rcp_f32 s1, s1
	v_xor_b32_e32 v6, v2, v4
	s_delay_alu instid0(VALU_DEP_3) | instskip(NEXT) | instid1(TRANS32_DEP_1)
	v_dual_mov_b32 v19, v0 :: v_dual_bitop2_b32 v10, v3, v4 bitop3:0x14
	s_mul_f32 s1, s1, 0x5f7ffffc
	s_delay_alu instid0(SALU_CYCLE_3) | instskip(NEXT) | instid1(SALU_CYCLE_3)
	s_mul_f32 s8, s1, 0x2f800000
	s_trunc_f32 s8, s8
	s_delay_alu instid0(SALU_CYCLE_3) | instskip(SKIP_1) | instid1(SALU_CYCLE_2)
	s_fmamk_f32 s1, s8, 0xcf800000, s1
	s_cvt_u32_f32 s39, s8
	s_cvt_u32_f32 s38, s1
	s_delay_alu instid0(SALU_CYCLE_3) | instskip(NEXT) | instid1(SALU_CYCLE_1)
	s_mul_u64 s[50:51], s[48:49], s[38:39]
	s_mul_hi_u32 s53, s38, s51
	s_mul_i32 s52, s38, s51
	s_mul_hi_u32 s8, s38, s50
	s_mul_i32 s35, s39, s50
	s_add_nc_u64 s[52:53], s[8:9], s[52:53]
	s_mul_hi_u32 s1, s39, s50
	s_mul_hi_u32 s37, s39, s51
	s_add_co_u32 s8, s52, s35
	s_add_co_ci_u32 s8, s53, s1
	s_mul_i32 s50, s39, s51
	s_add_co_ci_u32 s51, s37, 0
	s_delay_alu instid0(SALU_CYCLE_1) | instskip(NEXT) | instid1(SALU_CYCLE_1)
	s_add_nc_u64 s[50:51], s[8:9], s[50:51]
	s_add_co_u32 s38, s38, s50
	s_cselect_b32 s1, -1, 0
	s_delay_alu instid0(SALU_CYCLE_1) | instskip(SKIP_1) | instid1(SALU_CYCLE_1)
	s_cmp_lg_u32 s1, 0
	s_add_co_ci_u32 s39, s39, s51
	s_mul_u64 s[48:49], s[48:49], s[38:39]
	s_delay_alu instid0(SALU_CYCLE_1)
	s_mul_hi_u32 s51, s38, s49
	s_mul_i32 s50, s38, s49
	s_mul_hi_u32 s8, s38, s48
	s_mul_i32 s35, s39, s48
	s_add_nc_u64 s[50:51], s[8:9], s[50:51]
	s_mul_hi_u32 s1, s39, s48
	s_mul_hi_u32 s37, s39, s49
	s_add_co_u32 s8, s50, s35
	s_add_co_ci_u32 s8, s51, s1
	s_mul_i32 s48, s39, s49
	s_add_co_ci_u32 s49, s37, 0
	s_delay_alu instid0(SALU_CYCLE_1) | instskip(NEXT) | instid1(SALU_CYCLE_1)
	s_add_nc_u64 s[48:49], s[8:9], s[48:49]
	s_add_co_u32 s38, s38, s48
	s_cselect_b32 s1, -1, 0
	v_mul_hi_u32 v18, v6, s38
	s_cmp_lg_u32 s1, 0
	s_add_co_ci_u32 s8, s39, s49
	s_and_b64 s[48:49], s[38:39], s[30:31]
	v_mul_u64_e32 v[8:9], s[8:9], v[6:7]
	v_mul_u64_e32 v[2:3], s[48:49], v[10:11]
	;; [unrolled: 1-line block ×3, first 2 shown]
	s_delay_alu instid0(VALU_DEP_3) | instskip(NEXT) | instid1(VALU_DEP_1)
	v_add_nc_u64_e32 v[8:9], v[18:19], v[8:9]
	v_add_co_u32 v1, vcc_lo, v8, v2
	s_delay_alu instid0(VALU_DEP_2) | instskip(NEXT) | instid1(VALU_DEP_4)
	v_add_co_ci_u32_e32 v18, vcc_lo, v9, v3, vcc_lo
	v_add_co_ci_u32_e32 v17, vcc_lo, 0, v17, vcc_lo
	s_delay_alu instid0(VALU_DEP_1) | instskip(NEXT) | instid1(VALU_DEP_1)
	v_add_nc_u64_e32 v[2:3], v[18:19], v[16:17]
	v_mul_u64_e32 v[8:9], s[2:3], v[2:3]
	s_delay_alu instid0(VALU_DEP_1) | instskip(NEXT) | instid1(VALU_DEP_2)
	v_sub_nc_u32_e32 v1, v10, v9
	v_sub_co_u32 v5, vcc_lo, v6, v8
	s_delay_alu instid0(VALU_DEP_1) | instskip(NEXT) | instid1(VALU_DEP_3)
	v_sub_co_ci_u32_e64 v10, null, v10, v9, vcc_lo
	v_subrev_co_ci_u32_e64 v1, null, s3, v1, vcc_lo
	s_delay_alu instid0(VALU_DEP_3) | instskip(SKIP_1) | instid1(VALU_DEP_3)
	v_sub_co_u32 v6, s1, v5, s2
	v_add_nc_u64_e32 v[8:9], 1, v[2:3]
	v_subrev_co_ci_u32_e64 v1, null, 0, v1, s1
	s_delay_alu instid0(VALU_DEP_3) | instskip(SKIP_1) | instid1(VALU_DEP_3)
	v_cmp_le_u32_e32 vcc_lo, s2, v6
	v_cndmask_b32_e64 v6, 0, -1, vcc_lo
	v_cmp_le_u32_e32 vcc_lo, s3, v1
	v_cndmask_b32_e64 v7, 0, -1, vcc_lo
	v_cmp_le_u32_e32 vcc_lo, s2, v5
	v_cndmask_b32_e64 v5, 0, -1, vcc_lo
	v_cmp_le_u32_e32 vcc_lo, s3, v10
	v_cndmask_b32_e64 v11, 0, -1, vcc_lo
	v_cmp_eq_u32_e32 vcc_lo, s3, v1
	v_cndmask_b32_e32 v1, v7, v6, vcc_lo
	v_cmp_eq_u32_e32 vcc_lo, s3, v10
	v_add_nc_u64_e32 v[6:7], 2, v[2:3]
	v_cndmask_b32_e32 v5, v11, v5, vcc_lo
	s_delay_alu instid0(VALU_DEP_4) | instskip(NEXT) | instid1(VALU_DEP_3)
	v_cmp_ne_u32_e32 vcc_lo, 0, v1
	v_cndmask_b32_e32 v1, v9, v7, vcc_lo
	s_delay_alu instid0(VALU_DEP_3) | instskip(SKIP_1) | instid1(VALU_DEP_2)
	v_cmp_ne_u32_e64 s1, 0, v5
	v_dual_cndmask_b32 v5, v8, v6, vcc_lo :: v_dual_bitop2_b32 v4, s34, v4 bitop3:0x14
	v_cndmask_b32_e64 v1, v3, v1, s1
	s_delay_alu instid0(VALU_DEP_2) | instskip(NEXT) | instid1(VALU_DEP_2)
	v_dual_cndmask_b32 v2, v2, v5, s1 :: v_dual_mov_b32 v5, v4
	v_xor_b32_e32 v3, v1, v4
	s_delay_alu instid0(VALU_DEP_2) | instskip(NEXT) | instid1(VALU_DEP_1)
	v_xor_b32_e32 v2, v2, v4
	v_sub_nc_u64_e32 v[4:5], v[2:3], v[4:5]
                                        ; implicit-def: $vgpr2_vgpr3
	s_and_not1_saveexec_b32 s1, s36
	s_cbranch_execz .LBB17_5
.LBB17_7:                               ;   in Loop: Header=BB17_3 Depth=1
	s_sub_co_i32 s2, 0, s16
	s_delay_alu instid0(SALU_CYCLE_1) | instskip(NEXT) | instid1(VALU_DEP_1)
	v_mul_lo_u32 v1, s2, v14
	v_mul_hi_u32 v1, v14, v1
	s_delay_alu instid0(VALU_DEP_1) | instskip(NEXT) | instid1(VALU_DEP_1)
	v_add_nc_u32_e32 v1, v14, v1
	v_mul_hi_u32 v1, v2, v1
	s_delay_alu instid0(VALU_DEP_1) | instskip(NEXT) | instid1(VALU_DEP_1)
	v_mul_lo_u32 v3, v1, s16
	v_dual_sub_nc_u32 v2, v2, v3 :: v_dual_add_nc_u32 v3, 1, v1
	s_delay_alu instid0(VALU_DEP_1) | instskip(SKIP_1) | instid1(VALU_DEP_2)
	v_subrev_nc_u32_e32 v4, s16, v2
	v_cmp_le_u32_e32 vcc_lo, s16, v2
	v_dual_cndmask_b32 v2, v2, v4 :: v_dual_cndmask_b32 v1, v1, v3
	s_delay_alu instid0(VALU_DEP_1) | instskip(NEXT) | instid1(VALU_DEP_2)
	v_cmp_le_u32_e32 vcc_lo, s16, v2
	v_add_nc_u32_e32 v3, 1, v1
	s_delay_alu instid0(VALU_DEP_1)
	v_cndmask_b32_e32 v4, v1, v3, vcc_lo
	s_or_b32 exec_lo, exec_lo, s1
	s_and_saveexec_b32 s35, s0
	s_cbranch_execz .LBB17_2
.LBB17_8:                               ;   in Loop: Header=BB17_3 Depth=1
	v_dual_sub_nc_u32 v1, 0, v12 :: v_dual_mov_b32 v3, v0
	s_mov_b32 s47, 0
	v_ashrrev_i32_e32 v5, 31, v12
	s_delay_alu instid0(VALU_DEP_2) | instskip(NEXT) | instid1(VALU_DEP_2)
	v_dual_add_nc_u32 v16, 1, v4 :: v_dual_max_i32 v2, v12, v1
	v_dual_mov_b32 v4, v13 :: v_dual_bitop2_b32 v5, s17, v5 bitop3:0x14
	s_delay_alu instid0(VALU_DEP_2) | instskip(NEXT) | instid1(VALU_DEP_1)
	v_mul_u64_e32 v[6:7], s[22:23], v[2:3]
	v_mul_lo_u32 v1, v7, s33
	s_delay_alu instid0(VALU_DEP_1) | instskip(NEXT) | instid1(VALU_DEP_1)
	v_dual_sub_nc_u32 v1, v2, v1 :: v_dual_add_nc_u32 v2, 1, v7
	v_subrev_nc_u32_e32 v3, s33, v1
	v_cmp_le_u32_e32 vcc_lo, s33, v1
	s_delay_alu instid0(VALU_DEP_2) | instskip(NEXT) | instid1(VALU_DEP_1)
	v_dual_cndmask_b32 v2, v7, v2 :: v_dual_cndmask_b32 v1, v1, v3
	v_add_nc_u32_e32 v3, 1, v2
	s_delay_alu instid0(VALU_DEP_2) | instskip(NEXT) | instid1(VALU_DEP_2)
	v_cmp_le_u32_e32 vcc_lo, s33, v1
	v_dual_cndmask_b32 v1, v2, v3, vcc_lo :: v_dual_mov_b32 v3, v0
	s_delay_alu instid0(VALU_DEP_1) | instskip(NEXT) | instid1(VALU_DEP_1)
	v_xor_b32_e32 v1, v1, v5
	v_sub_nc_u32_e32 v1, v1, v5
	s_delay_alu instid0(VALU_DEP_1) | instskip(NEXT) | instid1(VALU_DEP_1)
	v_mul_lo_u32 v2, v1, s4
	v_sub_nc_u32_e32 v2, v12, v2
	s_delay_alu instid0(VALU_DEP_1) | instskip(NEXT) | instid1(VALU_DEP_1)
	v_mul_lo_u32 v5, v2, s6
	v_sub_nc_u32_e32 v2, 0, v5
	s_delay_alu instid0(VALU_DEP_1) | instskip(NEXT) | instid1(VALU_DEP_1)
	v_max_i32_e32 v2, v5, v2
	v_mul_u64_e32 v[6:7], s[22:23], v[2:3]
	s_delay_alu instid0(VALU_DEP_1) | instskip(NEXT) | instid1(VALU_DEP_1)
	v_mul_lo_u32 v3, v7, s33
	v_sub_nc_u32_e32 v2, v2, v3
	v_add_nc_u32_e32 v3, 1, v7
	s_delay_alu instid0(VALU_DEP_2) | instskip(NEXT) | instid1(VALU_DEP_2)
	v_cmp_le_u32_e32 vcc_lo, s33, v2
	v_cndmask_b32_e32 v3, v7, v3, vcc_lo
	v_subrev_nc_u32_e32 v6, s33, v2
	s_delay_alu instid0(VALU_DEP_1) | instskip(NEXT) | instid1(VALU_DEP_1)
	v_dual_cndmask_b32 v2, v2, v6 :: v_dual_ashrrev_i32 v5, 31, v5
	v_dual_add_nc_u32 v6, 1, v3 :: v_dual_bitop2_b32 v5, s17, v5 bitop3:0x14
	s_delay_alu instid0(VALU_DEP_2) | instskip(NEXT) | instid1(VALU_DEP_2)
	v_cmp_le_u32_e32 vcc_lo, s33, v2
	v_cndmask_b32_e32 v2, v3, v6, vcc_lo
	s_delay_alu instid0(VALU_DEP_1) | instskip(NEXT) | instid1(VALU_DEP_1)
	v_xor_b32_e32 v2, v2, v5
	v_sub_nc_u32_e32 v3, v2, v5
	v_mul_lo_u32 v2, v12, s5
	s_delay_alu instid0(VALU_DEP_2) | instskip(NEXT) | instid1(VALU_DEP_2)
	v_mad_u32 v15, v1, s6, v3
	v_ashrrev_i32_e32 v3, 31, v2
	s_delay_alu instid0(VALU_DEP_2) | instskip(NEXT) | instid1(VALU_DEP_2)
	v_mul_lo_u32 v17, s7, v15
	v_lshl_add_u64 v[2:3], v[2:3], 1, s[12:13]
	v_cmp_lt_i32_e64 s1, v15, v16
	s_branch .LBB17_10
.LBB17_9:                               ;   in Loop: Header=BB17_10 Depth=2
	s_or_b32 exec_lo, exec_lo, s48
	v_add_nc_u32_e32 v4, s42, v4
	s_delay_alu instid0(VALU_DEP_1) | instskip(SKIP_1) | instid1(SALU_CYCLE_1)
	v_cmp_le_i32_e32 vcc_lo, s5, v4
	s_or_b32 s47, vcc_lo, s47
	s_and_not1_b32 exec_lo, exec_lo, s47
	s_cbranch_execz .LBB17_2
.LBB17_10:                              ;   Parent Loop BB17_3 Depth=1
                                        ; =>  This Loop Header: Depth=2
                                        ;       Child Loop BB17_17 Depth 3
                                        ;         Child Loop BB17_24 Depth 4
	v_add_nc_u32_e32 v1, 1, v4
                                        ; implicit-def: $vgpr8_vgpr9
	s_mov_b32 s2, exec_lo
	s_delay_alu instid0(VALU_DEP_1) | instskip(NEXT) | instid1(VALU_DEP_1)
	v_mad_nc_u64_u32 v[6:7], v1, s18, -1
	v_mad_u32 v7, v1, s19, v7
	s_delay_alu instid0(VALU_DEP_1) | instskip(NEXT) | instid1(VALU_DEP_1)
	v_or_b32_e32 v1, s21, v7
	v_cmpx_ne_u64_e32 0, v[0:1]
	s_xor_b32 s3, exec_lo, s2
	s_cbranch_execnz .LBB17_13
; %bb.11:                               ;   in Loop: Header=BB17_10 Depth=2
	s_and_not1_saveexec_b32 s2, s3
	s_cbranch_execnz .LBB17_14
.LBB17_12:                              ;   in Loop: Header=BB17_10 Depth=2
	s_or_b32 exec_lo, exec_lo, s2
	v_mov_b32_e32 v5, v0
	s_and_saveexec_b32 s48, s1
	s_cbranch_execz .LBB17_9
	s_branch .LBB17_15
.LBB17_13:                              ;   in Loop: Header=BB17_10 Depth=2
	s_ashr_i32 s36, s21, 31
	v_dual_mov_b32 v11, v0 :: v_dual_ashrrev_i32 v8, 31, v7
	s_mov_b32 s37, s36
	v_mov_b32_e32 v25, v0
	s_add_nc_u64 s[38:39], s[20:21], s[36:37]
	s_delay_alu instid0(VALU_DEP_2) | instskip(SKIP_1) | instid1(SALU_CYCLE_1)
	v_mov_b32_e32 v9, v8
	s_xor_b64 s[38:39], s[38:39], s[36:37]
	s_cvt_f32_u32 s2, s38
	s_cvt_f32_u32 s8, s39
	s_sub_nc_u64 s[50:51], 0, s[38:39]
	v_add_nc_u64_e32 v[6:7], v[6:7], v[8:9]
	v_mov_b32_e32 v21, v0
	s_fmamk_f32 s2, s8, 0x4f800000, s2
	s_delay_alu instid0(SALU_CYCLE_3) | instskip(NEXT) | instid1(VALU_DEP_2)
	v_s_rcp_f32 s2, s2
	v_xor_b32_e32 v10, v6, v8
	s_delay_alu instid0(VALU_DEP_3) | instskip(NEXT) | instid1(TRANS32_DEP_1)
	v_xor_b32_e32 v20, v7, v8
	s_mul_f32 s2, s2, 0x5f7ffffc
	s_delay_alu instid0(SALU_CYCLE_3) | instskip(NEXT) | instid1(SALU_CYCLE_3)
	s_mul_f32 s8, s2, 0x2f800000
	s_trunc_f32 s8, s8
	s_delay_alu instid0(SALU_CYCLE_3) | instskip(SKIP_1) | instid1(SALU_CYCLE_2)
	s_fmamk_f32 s2, s8, 0xcf800000, s2
	s_cvt_u32_f32 s49, s8
	s_cvt_u32_f32 s48, s2
	s_delay_alu instid0(SALU_CYCLE_3) | instskip(NEXT) | instid1(SALU_CYCLE_1)
	s_mul_u64 s[52:53], s[50:51], s[48:49]
	s_mul_hi_u32 s55, s48, s53
	s_mul_i32 s54, s48, s53
	s_mul_hi_u32 s8, s48, s52
	s_mul_i32 s37, s49, s52
	s_add_nc_u64 s[54:55], s[8:9], s[54:55]
	s_mul_hi_u32 s2, s49, s52
	s_mul_hi_u32 s56, s49, s53
	s_add_co_u32 s8, s54, s37
	s_add_co_ci_u32 s8, s55, s2
	s_mul_i32 s52, s49, s53
	s_add_co_ci_u32 s53, s56, 0
	s_delay_alu instid0(SALU_CYCLE_1) | instskip(NEXT) | instid1(SALU_CYCLE_1)
	s_add_nc_u64 s[52:53], s[8:9], s[52:53]
	s_add_co_u32 s48, s48, s52
	s_cselect_b32 s2, -1, 0
	s_delay_alu instid0(SALU_CYCLE_1) | instskip(SKIP_1) | instid1(SALU_CYCLE_1)
	s_cmp_lg_u32 s2, 0
	s_add_co_ci_u32 s49, s49, s53
	s_mul_u64 s[50:51], s[50:51], s[48:49]
	s_delay_alu instid0(SALU_CYCLE_1)
	s_mul_hi_u32 s53, s48, s51
	s_mul_i32 s52, s48, s51
	s_mul_hi_u32 s8, s48, s50
	s_mul_i32 s37, s49, s50
	s_add_nc_u64 s[52:53], s[8:9], s[52:53]
	s_mul_hi_u32 s2, s49, s50
	s_mul_hi_u32 s54, s49, s51
	s_add_co_u32 s8, s52, s37
	s_add_co_ci_u32 s8, s53, s2
	s_mul_i32 s50, s49, s51
	s_add_co_ci_u32 s51, s54, 0
	s_delay_alu instid0(SALU_CYCLE_1) | instskip(NEXT) | instid1(SALU_CYCLE_1)
	s_add_nc_u64 s[50:51], s[8:9], s[50:51]
	s_add_co_u32 s2, s48, s50
	s_cselect_b32 s8, -1, 0
	v_mul_hi_u32 v24, v10, s2
	s_cmp_lg_u32 s8, 0
	s_add_co_ci_u32 s8, s49, s51
	s_and_b64 s[48:49], s[2:3], s[30:31]
	v_mul_u64_e32 v[18:19], s[8:9], v[10:11]
	v_mul_u64_e32 v[6:7], s[48:49], v[20:21]
	;; [unrolled: 1-line block ×3, first 2 shown]
	s_delay_alu instid0(VALU_DEP_3) | instskip(NEXT) | instid1(VALU_DEP_1)
	v_add_nc_u64_e32 v[18:19], v[24:25], v[18:19]
	v_add_co_u32 v1, vcc_lo, v18, v6
	s_delay_alu instid0(VALU_DEP_2) | instskip(NEXT) | instid1(VALU_DEP_4)
	v_add_co_ci_u32_e32 v24, vcc_lo, v19, v7, vcc_lo
	v_add_co_ci_u32_e32 v23, vcc_lo, 0, v23, vcc_lo
	s_delay_alu instid0(VALU_DEP_1) | instskip(NEXT) | instid1(VALU_DEP_1)
	v_add_nc_u64_e32 v[6:7], v[24:25], v[22:23]
	v_mul_u64_e32 v[18:19], s[38:39], v[6:7]
	s_delay_alu instid0(VALU_DEP_1) | instskip(NEXT) | instid1(VALU_DEP_2)
	v_sub_nc_u32_e32 v1, v20, v19
	v_sub_co_u32 v5, vcc_lo, v10, v18
	s_delay_alu instid0(VALU_DEP_1) | instskip(NEXT) | instid1(VALU_DEP_3)
	v_sub_co_ci_u32_e64 v20, null, v20, v19, vcc_lo
	v_subrev_co_ci_u32_e64 v1, null, s39, v1, vcc_lo
	s_delay_alu instid0(VALU_DEP_3) | instskip(SKIP_1) | instid1(VALU_DEP_3)
	v_sub_co_u32 v9, s2, v5, s38
	v_add_nc_u64_e32 v[18:19], 1, v[6:7]
	v_subrev_co_ci_u32_e64 v1, null, 0, v1, s2
	s_delay_alu instid0(VALU_DEP_3) | instskip(SKIP_1) | instid1(VALU_DEP_3)
	v_cmp_le_u32_e32 vcc_lo, s38, v9
	v_cndmask_b32_e64 v9, 0, -1, vcc_lo
	v_cmp_le_u32_e32 vcc_lo, s39, v1
	v_cndmask_b32_e64 v10, 0, -1, vcc_lo
	;; [unrolled: 2-line block ×4, first 2 shown]
	v_cmp_eq_u32_e32 vcc_lo, s39, v1
	v_cndmask_b32_e32 v1, v10, v9, vcc_lo
	v_cmp_eq_u32_e32 vcc_lo, s39, v20
	v_add_nc_u64_e32 v[10:11], 2, v[6:7]
	v_cndmask_b32_e32 v5, v21, v5, vcc_lo
	s_delay_alu instid0(VALU_DEP_4) | instskip(NEXT) | instid1(VALU_DEP_2)
	v_cmp_ne_u32_e32 vcc_lo, 0, v1
	v_cmp_ne_u32_e64 s2, 0, v5
	s_delay_alu instid0(VALU_DEP_4) | instskip(NEXT) | instid1(VALU_DEP_1)
	v_dual_cndmask_b32 v1, v19, v11, vcc_lo :: v_dual_cndmask_b32 v5, v18, v10, vcc_lo
	v_dual_cndmask_b32 v1, v7, v1, s2 :: v_dual_bitop2_b32 v8, s36, v8 bitop3:0x14
	s_delay_alu instid0(VALU_DEP_1) | instskip(NEXT) | instid1(VALU_DEP_2)
	v_dual_cndmask_b32 v5, v6, v5, s2 :: v_dual_mov_b32 v9, v8
	v_xor_b32_e32 v7, v1, v8
	s_delay_alu instid0(VALU_DEP_2) | instskip(NEXT) | instid1(VALU_DEP_1)
	v_xor_b32_e32 v6, v5, v8
	v_sub_nc_u64_e32 v[8:9], v[6:7], v[8:9]
                                        ; implicit-def: $vgpr6_vgpr7
	s_and_not1_saveexec_b32 s2, s3
	s_cbranch_execz .LBB17_12
.LBB17_14:                              ;   in Loop: Header=BB17_10 Depth=2
	v_cvt_f32_u32_e32 v1, s20
	s_sub_co_i32 s3, 0, s20
	s_delay_alu instid0(VALU_DEP_1) | instskip(SKIP_1) | instid1(TRANS32_DEP_1)
	v_rcp_iflag_f32_e32 v1, v1
	v_nop
	v_mul_f32_e32 v1, 0x4f7ffffe, v1
	s_delay_alu instid0(VALU_DEP_1) | instskip(NEXT) | instid1(VALU_DEP_1)
	v_cvt_u32_f32_e32 v1, v1
	v_mul_lo_u32 v5, s3, v1
	s_delay_alu instid0(VALU_DEP_1) | instskip(NEXT) | instid1(VALU_DEP_1)
	v_mul_hi_u32 v5, v1, v5
	v_add_nc_u32_e32 v1, v1, v5
	s_delay_alu instid0(VALU_DEP_1) | instskip(NEXT) | instid1(VALU_DEP_1)
	v_mul_hi_u32 v1, v6, v1
	v_mul_lo_u32 v5, v1, s20
	s_delay_alu instid0(VALU_DEP_1) | instskip(NEXT) | instid1(VALU_DEP_1)
	v_sub_nc_u32_e32 v5, v6, v5
	v_subrev_nc_u32_e32 v7, s20, v5
	v_cmp_le_u32_e32 vcc_lo, s20, v5
	s_delay_alu instid0(VALU_DEP_2) | instskip(NEXT) | instid1(VALU_DEP_1)
	v_dual_cndmask_b32 v5, v5, v7 :: v_dual_add_nc_u32 v6, 1, v1
	v_cndmask_b32_e32 v1, v1, v6, vcc_lo
	s_delay_alu instid0(VALU_DEP_2) | instskip(NEXT) | instid1(VALU_DEP_2)
	v_cmp_le_u32_e32 vcc_lo, s20, v5
	v_add_nc_u32_e32 v6, 1, v1
	s_delay_alu instid0(VALU_DEP_1)
	v_cndmask_b32_e32 v8, v1, v6, vcc_lo
	s_or_b32 exec_lo, exec_lo, s2
	v_mov_b32_e32 v5, v0
	s_and_saveexec_b32 s48, s1
	s_cbranch_execz .LBB17_9
.LBB17_15:                              ;   in Loop: Header=BB17_10 Depth=2
	v_mul_lo_u32 v1, v4, s7
	s_delay_alu instid0(VALU_DEP_2) | instskip(SKIP_2) | instid1(VALU_DEP_3)
	v_mul_u64_e32 v[10:11], s[24:25], v[4:5]
	v_mov_b32_e32 v22, v15
	s_mov_b32 s49, 0
	v_dual_mov_b32 v7, v0 :: v_dual_sub_nc_u32 v6, 0, v1
	s_delay_alu instid0(VALU_DEP_1) | instskip(NEXT) | instid1(VALU_DEP_1)
	v_max_i32_e32 v6, v1, v6
	v_mul_u64_e32 v[18:19], s[24:25], v[6:7]
	v_mul_lo_u32 v7, v11, s41
	s_delay_alu instid0(VALU_DEP_1) | instskip(NEXT) | instid1(VALU_DEP_1)
	v_sub_nc_u32_e32 v7, v4, v7
	v_cmp_le_u32_e32 vcc_lo, s41, v7
	s_delay_alu instid0(VALU_DEP_4) | instskip(NEXT) | instid1(VALU_DEP_1)
	v_mul_lo_u32 v9, v19, s41
	v_dual_add_nc_u32 v10, 1, v11 :: v_dual_sub_nc_u32 v6, v6, v9
	s_delay_alu instid0(VALU_DEP_1) | instskip(SKIP_2) | instid1(VALU_DEP_4)
	v_dual_cndmask_b32 v10, v11, v10 :: v_dual_add_nc_u32 v9, 1, v19
	v_subrev_nc_u32_e32 v11, s41, v7
	v_ashrrev_i32_e32 v1, 31, v1
	v_subrev_nc_u32_e32 v18, s41, v6
	v_cmp_le_u32_e64 s2, s41, v6
	s_delay_alu instid0(VALU_DEP_4) | instskip(NEXT) | instid1(VALU_DEP_2)
	v_dual_cndmask_b32 v7, v7, v11, vcc_lo :: v_dual_add_nc_u32 v11, 1, v10
	v_dual_cndmask_b32 v9, v19, v9, s2 :: v_dual_cndmask_b32 v6, v6, v18, s2
	s_delay_alu instid0(VALU_DEP_2) | instskip(SKIP_1) | instid1(VALU_DEP_3)
	v_cmp_le_u32_e32 vcc_lo, s41, v7
	v_dual_add_nc_u32 v19, 1, v8 :: v_dual_bitop2_b32 v1, s21, v1 bitop3:0x14
	v_dual_cndmask_b32 v7, v10, v11 :: v_dual_add_nc_u32 v18, 1, v9
	s_delay_alu instid0(VALU_DEP_4) | instskip(NEXT) | instid1(VALU_DEP_2)
	v_cmp_le_u32_e32 vcc_lo, s41, v6
	v_dual_cndmask_b32 v6, v9, v18, vcc_lo :: v_dual_bitop2_b32 v7, s21, v7 bitop3:0x14
	s_delay_alu instid0(VALU_DEP_1) | instskip(NEXT) | instid1(VALU_DEP_2)
	v_subrev_nc_u32_e32 v7, s21, v7
	v_xor_b32_e32 v6, v6, v1
	s_delay_alu instid0(VALU_DEP_1) | instskip(NEXT) | instid1(VALU_DEP_1)
	v_sub_nc_u32_e32 v1, v6, v1
	v_mad_u32 v18, v7, s7, v1
	v_lshl_add_u64 v[6:7], v[4:5], 1, v[2:3]
	v_mov_b32_e32 v5, v17
	s_delay_alu instid0(VALU_DEP_3)
	v_cmp_lt_i32_e64 s2, v18, v19
	s_branch .LBB17_17
.LBB17_16:                              ;   in Loop: Header=BB17_17 Depth=3
	s_or_b32 exec_lo, exec_lo, s50
	s_delay_alu instid0(VALU_DEP_1) | instskip(SKIP_2) | instid1(SALU_CYCLE_1)
	v_cmp_ge_i32_e32 vcc_lo, v20, v16
	v_dual_mov_b32 v22, v20 :: v_dual_add_nc_u32 v5, s7, v5
	s_or_b32 s49, vcc_lo, s49
	s_and_not1_b32 exec_lo, exec_lo, s49
	s_cbranch_execz .LBB17_9
.LBB17_17:                              ;   Parent Loop BB17_3 Depth=1
                                        ;     Parent Loop BB17_10 Depth=2
                                        ; =>    This Loop Header: Depth=3
                                        ;         Child Loop BB17_24 Depth 4
	s_delay_alu instid0(VALU_DEP_1) | instskip(NEXT) | instid1(VALU_DEP_2)
	v_add_nc_u32_e32 v20, 1, v22
	s_and_saveexec_b32 s50, s2
	s_cbranch_execz .LBB17_16
; %bb.18:                               ;   in Loop: Header=BB17_17 Depth=3
	s_delay_alu instid0(VALU_DEP_1) | instskip(SKIP_1) | instid1(VALU_DEP_1)
	v_mad_nc_i64_i32 v[8:9], v20, s16, -1
                                        ; implicit-def: $vgpr10_vgpr11
	s_mov_b32 s3, exec_lo
	v_or_b32_e32 v1, s15, v9
	s_delay_alu instid0(VALU_DEP_1)
	v_cmpx_ne_u64_e32 0, v[0:1]
	s_xor_b32 s51, exec_lo, s3
	s_cbranch_execz .LBB17_20
; %bb.19:                               ;   in Loop: Header=BB17_17 Depth=3
	s_ashr_i32 s36, s15, 31
	v_dual_mov_b32 v25, v0 :: v_dual_ashrrev_i32 v10, 31, v9
	s_mov_b32 s37, s36
	v_mov_b32_e32 v33, v0
	s_add_nc_u64 s[38:39], s[14:15], s[36:37]
	s_delay_alu instid0(VALU_DEP_2) | instskip(SKIP_1) | instid1(SALU_CYCLE_1)
	v_mov_b32_e32 v11, v10
	s_xor_b64 s[38:39], s[38:39], s[36:37]
	s_cvt_f32_u32 s3, s38
	s_cvt_f32_u32 s8, s39
	s_sub_nc_u64 s[54:55], 0, s[38:39]
	v_add_nc_u64_e32 v[8:9], v[8:9], v[10:11]
	v_mov_b32_e32 v29, v0
	s_fmamk_f32 s3, s8, 0x4f800000, s3
	s_delay_alu instid0(SALU_CYCLE_3) | instskip(NEXT) | instid1(VALU_DEP_2)
	v_s_rcp_f32 s3, s3
	v_xor_b32_e32 v24, v8, v10
	s_delay_alu instid0(VALU_DEP_3) | instskip(SKIP_1) | instid1(TRANS32_DEP_1)
	v_xor_b32_e32 v28, v9, v10
	v_xor_b32_e32 v10, s36, v10
	s_mul_f32 s3, s3, 0x5f7ffffc
	s_delay_alu instid0(SALU_CYCLE_3) | instskip(NEXT) | instid1(SALU_CYCLE_3)
	s_mul_f32 s8, s3, 0x2f800000
	s_trunc_f32 s8, s8
	s_delay_alu instid0(SALU_CYCLE_3) | instskip(SKIP_1) | instid1(SALU_CYCLE_2)
	s_fmamk_f32 s3, s8, 0xcf800000, s3
	s_cvt_u32_f32 s53, s8
	s_cvt_u32_f32 s52, s3
	s_delay_alu instid0(SALU_CYCLE_3) | instskip(NEXT) | instid1(SALU_CYCLE_1)
	s_mul_u64 s[56:57], s[54:55], s[52:53]
	s_mul_hi_u32 s59, s52, s57
	s_mul_i32 s58, s52, s57
	s_mul_hi_u32 s8, s52, s56
	s_mul_i32 s37, s53, s56
	s_add_nc_u64 s[58:59], s[8:9], s[58:59]
	s_mul_hi_u32 s3, s53, s56
	s_mul_hi_u32 s60, s53, s57
	s_add_co_u32 s8, s58, s37
	s_add_co_ci_u32 s8, s59, s3
	s_mul_i32 s56, s53, s57
	s_add_co_ci_u32 s57, s60, 0
	s_delay_alu instid0(SALU_CYCLE_1) | instskip(NEXT) | instid1(SALU_CYCLE_1)
	s_add_nc_u64 s[56:57], s[8:9], s[56:57]
	s_add_co_u32 s52, s52, s56
	s_cselect_b32 s3, -1, 0
	s_delay_alu instid0(SALU_CYCLE_1) | instskip(SKIP_1) | instid1(SALU_CYCLE_1)
	s_cmp_lg_u32 s3, 0
	s_add_co_ci_u32 s53, s53, s57
	s_mul_u64 s[54:55], s[54:55], s[52:53]
	s_delay_alu instid0(SALU_CYCLE_1)
	s_mul_hi_u32 s57, s52, s55
	s_mul_i32 s56, s52, s55
	s_mul_hi_u32 s8, s52, s54
	s_mul_i32 s37, s53, s54
	s_add_nc_u64 s[56:57], s[8:9], s[56:57]
	s_mul_hi_u32 s3, s53, s54
	s_mul_hi_u32 s58, s53, s55
	s_add_co_u32 s8, s56, s37
	s_add_co_ci_u32 s8, s57, s3
	s_mul_i32 s54, s53, s55
	s_add_co_ci_u32 s55, s58, 0
	s_delay_alu instid0(SALU_CYCLE_1) | instskip(NEXT) | instid1(SALU_CYCLE_1)
	s_add_nc_u64 s[54:55], s[8:9], s[54:55]
	s_add_co_u32 s52, s52, s54
	s_cselect_b32 s3, -1, 0
	v_mul_hi_u32 v32, v24, s52
	s_cmp_lg_u32 s3, 0
	s_add_co_ci_u32 s8, s53, s55
	s_and_b64 s[54:55], s[52:53], s[30:31]
	v_mul_u64_e32 v[26:27], s[8:9], v[24:25]
	v_mul_u64_e32 v[8:9], s[54:55], v[28:29]
	;; [unrolled: 1-line block ×3, first 2 shown]
	s_delay_alu instid0(VALU_DEP_3) | instskip(NEXT) | instid1(VALU_DEP_1)
	v_add_nc_u64_e32 v[26:27], v[32:33], v[26:27]
	v_add_co_u32 v1, vcc_lo, v26, v8
	s_delay_alu instid0(VALU_DEP_2) | instskip(NEXT) | instid1(VALU_DEP_4)
	v_add_co_ci_u32_e32 v32, vcc_lo, v27, v9, vcc_lo
	v_add_co_ci_u32_e32 v31, vcc_lo, 0, v31, vcc_lo
	s_delay_alu instid0(VALU_DEP_1) | instskip(NEXT) | instid1(VALU_DEP_1)
	v_add_nc_u64_e32 v[8:9], v[32:33], v[30:31]
	v_mul_u64_e32 v[26:27], s[38:39], v[8:9]
	s_delay_alu instid0(VALU_DEP_1) | instskip(NEXT) | instid1(VALU_DEP_2)
	v_sub_nc_u32_e32 v1, v28, v27
	v_sub_co_u32 v11, vcc_lo, v24, v26
	s_delay_alu instid0(VALU_DEP_1) | instskip(NEXT) | instid1(VALU_DEP_3)
	v_sub_co_ci_u32_e64 v23, null, v28, v27, vcc_lo
	v_subrev_co_ci_u32_e64 v1, null, s39, v1, vcc_lo
	s_delay_alu instid0(VALU_DEP_3) | instskip(SKIP_1) | instid1(VALU_DEP_3)
	v_sub_co_u32 v21, s3, v11, s38
	v_add_nc_u64_e32 v[26:27], 1, v[8:9]
	v_subrev_co_ci_u32_e64 v1, null, 0, v1, s3
	s_delay_alu instid0(VALU_DEP_3) | instskip(SKIP_1) | instid1(VALU_DEP_3)
	v_cmp_le_u32_e32 vcc_lo, s38, v21
	v_cndmask_b32_e64 v21, 0, -1, vcc_lo
	v_cmp_le_u32_e32 vcc_lo, s39, v1
	v_cndmask_b32_e64 v24, 0, -1, vcc_lo
	;; [unrolled: 2-line block ×4, first 2 shown]
	v_cmp_eq_u32_e32 vcc_lo, s39, v1
	v_cndmask_b32_e32 v1, v24, v21, vcc_lo
	v_cmp_eq_u32_e32 vcc_lo, s39, v23
	v_add_nc_u64_e32 v[24:25], 2, v[8:9]
	v_cndmask_b32_e32 v11, v28, v11, vcc_lo
	s_delay_alu instid0(VALU_DEP_4) | instskip(NEXT) | instid1(VALU_DEP_2)
	v_cmp_ne_u32_e32 vcc_lo, 0, v1
	v_cmp_ne_u32_e64 s3, 0, v11
	s_delay_alu instid0(VALU_DEP_4) | instskip(NEXT) | instid1(VALU_DEP_1)
	v_dual_cndmask_b32 v1, v27, v25, vcc_lo :: v_dual_cndmask_b32 v11, v26, v24, vcc_lo
	v_dual_cndmask_b32 v1, v9, v1, s3 :: v_dual_cndmask_b32 v8, v8, v11, s3
	s_delay_alu instid0(VALU_DEP_1) | instskip(NEXT) | instid1(VALU_DEP_2)
	v_dual_mov_b32 v11, v10 :: v_dual_bitop2_b32 v9, v1, v10 bitop3:0x14
	v_xor_b32_e32 v8, v8, v10
	s_delay_alu instid0(VALU_DEP_1)
	v_sub_nc_u64_e32 v[10:11], v[8:9], v[10:11]
                                        ; implicit-def: $vgpr8_vgpr9
.LBB17_20:                              ;   in Loop: Header=BB17_17 Depth=3
	s_and_not1_saveexec_b32 s3, s51
	s_cbranch_execz .LBB17_22
; %bb.21:                               ;   in Loop: Header=BB17_17 Depth=3
	v_cvt_f32_u32_e32 v1, s14
	s_sub_co_i32 s8, 0, s14
	s_delay_alu instid0(VALU_DEP_1) | instskip(SKIP_1) | instid1(TRANS32_DEP_1)
	v_rcp_iflag_f32_e32 v1, v1
	v_nop
	v_mul_f32_e32 v1, 0x4f7ffffe, v1
	s_delay_alu instid0(VALU_DEP_1) | instskip(NEXT) | instid1(VALU_DEP_1)
	v_cvt_u32_f32_e32 v1, v1
	v_mul_lo_u32 v9, s8, v1
	s_delay_alu instid0(VALU_DEP_1) | instskip(NEXT) | instid1(VALU_DEP_1)
	v_mul_hi_u32 v9, v1, v9
	v_add_nc_u32_e32 v1, v1, v9
	s_delay_alu instid0(VALU_DEP_1) | instskip(NEXT) | instid1(VALU_DEP_1)
	v_mul_hi_u32 v1, v8, v1
	v_mul_lo_u32 v9, v1, s14
	s_delay_alu instid0(VALU_DEP_1) | instskip(SKIP_1) | instid1(VALU_DEP_2)
	v_sub_nc_u32_e32 v8, v8, v9
	v_add_nc_u32_e32 v9, 1, v1
	v_subrev_nc_u32_e32 v10, s14, v8
	v_cmp_le_u32_e32 vcc_lo, s14, v8
	s_delay_alu instid0(VALU_DEP_2) | instskip(NEXT) | instid1(VALU_DEP_1)
	v_dual_cndmask_b32 v8, v8, v10 :: v_dual_cndmask_b32 v1, v1, v9
	v_cmp_le_u32_e32 vcc_lo, s14, v8
	s_delay_alu instid0(VALU_DEP_2) | instskip(NEXT) | instid1(VALU_DEP_1)
	v_add_nc_u32_e32 v9, 1, v1
	v_cndmask_b32_e32 v10, v1, v9, vcc_lo
.LBB17_22:                              ;   in Loop: Header=BB17_17 Depth=3
	s_or_b32 exec_lo, exec_lo, s3
	global_load_u16 v21, v[6:7], off
	v_dual_sub_nc_u32 v1, 0, v22 :: v_dual_mov_b32 v9, v0
	s_mov_b32 s51, 0
	s_delay_alu instid0(VALU_DEP_1) | instskip(NEXT) | instid1(VALU_DEP_1)
	v_dual_ashrrev_i32 v11, 31, v22 :: v_dual_max_i32 v8, v22, v1
	v_xor_b32_e32 v11, s15, v11
	s_delay_alu instid0(VALU_DEP_2) | instskip(NEXT) | instid1(VALU_DEP_1)
	v_mul_u64_e32 v[24:25], s[26:27], v[8:9]
	v_mul_lo_u32 v1, v25, s43
	s_delay_alu instid0(VALU_DEP_1) | instskip(SKIP_1) | instid1(VALU_DEP_2)
	v_sub_nc_u32_e32 v1, v8, v1
	v_add_nc_u32_e32 v8, 1, v25
	v_cmp_le_u32_e32 vcc_lo, s43, v1
	s_delay_alu instid0(VALU_DEP_2) | instskip(SKIP_1) | instid1(VALU_DEP_1)
	v_cndmask_b32_e32 v8, v25, v8, vcc_lo
	v_subrev_nc_u32_e32 v9, s43, v1
	v_dual_cndmask_b32 v1, v1, v9, vcc_lo :: v_dual_add_nc_u32 v9, 1, v8
	s_delay_alu instid0(VALU_DEP_1) | instskip(NEXT) | instid1(VALU_DEP_2)
	v_cmp_le_u32_e32 vcc_lo, s43, v1
	v_cndmask_b32_e32 v1, v8, v9, vcc_lo
	s_delay_alu instid0(VALU_DEP_1) | instskip(NEXT) | instid1(VALU_DEP_1)
	v_xor_b32_e32 v1, v1, v11
	v_sub_nc_u32_e32 v1, v1, v11
	s_delay_alu instid0(VALU_DEP_1) | instskip(NEXT) | instid1(VALU_DEP_1)
	v_mul_lo_u32 v8, v1, s6
	v_sub_nc_u32_e32 v8, v22, v8
	s_delay_alu instid0(VALU_DEP_1) | instskip(NEXT) | instid1(VALU_DEP_1)
	v_mul_lo_u32 v11, v8, s4
	v_dual_mov_b32 v9, v0 :: v_dual_sub_nc_u32 v8, 0, v11
	s_delay_alu instid0(VALU_DEP_1) | instskip(SKIP_1) | instid1(VALU_DEP_2)
	v_dual_ashrrev_i32 v11, 31, v11 :: v_dual_max_i32 v8, v11, v8
	v_mul_lo_u32 v1, v1, s4
	v_mul_u64_e32 v[22:23], s[26:27], v[8:9]
	s_delay_alu instid0(VALU_DEP_3) | instskip(NEXT) | instid1(VALU_DEP_2)
	v_xor_b32_e32 v11, s15, v11
	v_mul_lo_u32 v9, v23, s43
	s_delay_alu instid0(VALU_DEP_1) | instskip(NEXT) | instid1(VALU_DEP_1)
	v_dual_sub_nc_u32 v8, v8, v9 :: v_dual_add_nc_u32 v9, 1, v23
	v_subrev_nc_u32_e32 v22, s43, v8
	v_cmp_le_u32_e32 vcc_lo, s43, v8
	s_delay_alu instid0(VALU_DEP_2) | instskip(NEXT) | instid1(VALU_DEP_1)
	v_dual_cndmask_b32 v9, v23, v9 :: v_dual_cndmask_b32 v8, v8, v22
	v_dual_mov_b32 v23, v18 :: v_dual_add_nc_u32 v22, 1, v9
	s_delay_alu instid0(VALU_DEP_2) | instskip(NEXT) | instid1(VALU_DEP_2)
	v_cmp_le_u32_e32 vcc_lo, s43, v8
	v_cndmask_b32_e32 v8, v9, v22, vcc_lo
	v_not_b32_e32 v9, v10
	s_delay_alu instid0(VALU_DEP_2) | instskip(NEXT) | instid1(VALU_DEP_1)
	v_xor_b32_e32 v8, v8, v11
	v_sub_nc_u32_e32 v8, v8, v11
	s_delay_alu instid0(VALU_DEP_1) | instskip(SKIP_1) | instid1(VALU_DEP_2)
	v_add3_u32 v1, v8, v1, v9
	v_add_nc_u32_e32 v8, 1, v18
	v_cvt_f32_i32_e32 v1, v1
	s_delay_alu instid0(VALU_DEP_2) | instskip(NEXT) | instid1(VALU_DEP_2)
	v_mad_nc_i64_i32 v[8:9], s20, v8, -1
	v_cvt_f16_f32_e32 v22, v1
	s_branch .LBB17_24
.LBB17_23:                              ;   in Loop: Header=BB17_24 Depth=4
	s_or_b32 exec_lo, exec_lo, s3
	v_dual_add_nc_u32 v1, v5, v23 :: v_dual_sub_nc_u32 v11, 0, v23
	s_delay_alu instid0(VALU_DEP_2) | instskip(SKIP_4) | instid1(VALU_DEP_1)
	v_not_b32_e32 v10, v10
	v_add_nc_u64_e32 v[8:9], s[20:21], v[8:9]
	v_mov_b32_e32 v25, v0
	global_load_u16 v1, v1, s[10:11] scale_offset
	v_max_i32_e32 v24, v23, v11
	v_mul_u64_e32 v[26:27], s[28:29], v[24:25]
	s_delay_alu instid0(VALU_DEP_1) | instskip(NEXT) | instid1(VALU_DEP_1)
	v_mul_lo_u32 v11, v27, s44
	v_sub_nc_u32_e32 v11, v24, v11
	s_delay_alu instid0(VALU_DEP_1) | instskip(SKIP_1) | instid1(VALU_DEP_1)
	v_cmp_le_u32_e32 vcc_lo, s44, v11
	v_add_nc_u32_e32 v24, 1, v27
	v_cndmask_b32_e32 v24, v27, v24, vcc_lo
	v_subrev_nc_u32_e32 v25, s44, v11
	s_delay_alu instid0(VALU_DEP_1) | instskip(NEXT) | instid1(VALU_DEP_3)
	v_dual_cndmask_b32 v11, v11, v25 :: v_dual_ashrrev_i32 v26, 31, v23
	v_add_nc_u32_e32 v25, 1, v24
	s_delay_alu instid0(VALU_DEP_2) | instskip(NEXT) | instid1(VALU_DEP_2)
	v_cmp_le_u32_e32 vcc_lo, s44, v11
	v_dual_cndmask_b32 v11, v24, v25, vcc_lo :: v_dual_bitop2_b32 v26, s19, v26 bitop3:0x14
	s_delay_alu instid0(VALU_DEP_1) | instskip(NEXT) | instid1(VALU_DEP_1)
	v_xor_b32_e32 v11, v11, v26
	v_sub_nc_u32_e32 v11, v11, v26
	s_delay_alu instid0(VALU_DEP_1) | instskip(SKIP_1) | instid1(VALU_DEP_2)
	v_mad_u32 v24, s45, v11, v23
	v_add_nc_u32_e32 v23, 1, v23
	v_mul_lo_u32 v28, v24, s5
	s_delay_alu instid0(VALU_DEP_1) | instskip(NEXT) | instid1(VALU_DEP_1)
	v_dual_mov_b32 v25, v0 :: v_dual_sub_nc_u32 v24, 0, v28
	v_max_i32_e32 v24, v28, v24
	v_mul_lo_u32 v11, v11, s5
	s_delay_alu instid0(VALU_DEP_2) | instskip(SKIP_1) | instid1(VALU_DEP_1)
	v_mul_u64_e32 v[26:27], s[28:29], v[24:25]
	v_cvt_f32_f16_e32 v26, v22
	v_rcp_f32_e32 v26, v26
	s_delay_alu instid0(VALU_DEP_2) | instskip(NEXT) | instid1(VALU_DEP_1)
	v_mul_lo_u32 v25, v27, s44
	v_dual_sub_nc_u32 v24, v24, v25 :: v_dual_add_nc_u32 v25, 1, v27
	s_delay_alu instid0(VALU_DEP_1) | instskip(SKIP_4) | instid1(VALU_DEP_2)
	v_cmp_le_u32_e32 vcc_lo, s44, v24
	v_subrev_nc_u32_e32 v29, s44, v24
	s_wait_loadcnt 0x0
	v_cvt_f32_f16_e32 v30, v1
	v_dual_cndmask_b32 v25, v27, v25, vcc_lo :: v_dual_ashrrev_i32 v27, 31, v28
	v_dual_cndmask_b32 v24, v24, v29, vcc_lo :: v_dual_mul_f32 v28, v30, v26
	s_delay_alu instid0(VALU_DEP_2) | instskip(NEXT) | instid1(VALU_DEP_2)
	v_xor_b32_e32 v27, s19, v27
	v_cmp_le_u32_e32 vcc_lo, s44, v24
	s_delay_alu instid0(VALU_DEP_3) | instskip(NEXT) | instid1(VALU_DEP_1)
	v_fma_mix_f32 v30, -v22, v28, v1 op_sel_hi:[1,0,1]
	v_dual_fmac_f32 v28, v30, v26 :: v_dual_add_nc_u32 v29, 1, v25
	s_delay_alu instid0(VALU_DEP_1) | instskip(SKIP_1) | instid1(VALU_DEP_3)
	v_cndmask_b32_e32 v24, v25, v29, vcc_lo
	v_cmp_ge_i32_e32 vcc_lo, v23, v19
	v_fma_mix_f32 v25, -v22, v28, v1 op_sel_hi:[1,0,1]
	s_or_b32 s51, vcc_lo, s51
	s_delay_alu instid0(VALU_DEP_1) | instskip(NEXT) | instid1(VALU_DEP_1)
	v_dual_mul_f32 v25, v25, v26 :: v_dual_bitop2_b32 v24, v24, v27 bitop3:0x14
	v_sub_nc_u32_e32 v24, v24, v27
	s_delay_alu instid0(VALU_DEP_1) | instskip(NEXT) | instid1(VALU_DEP_3)
	v_add3_u32 v10, v24, v11, v10
	v_and_b32_e32 v11, 0xff800000, v25
	s_delay_alu instid0(VALU_DEP_2) | instskip(NEXT) | instid1(VALU_DEP_2)
	v_cvt_f32_i32_e32 v10, v10
	v_add_f32_e32 v11, v11, v28
	s_delay_alu instid0(VALU_DEP_2) | instskip(NEXT) | instid1(VALU_DEP_2)
	v_cvt_f16_f32_e32 v10, v10
	v_cvt_f16_f32_e32 v11, v11
	s_delay_alu instid0(VALU_DEP_2) | instskip(SKIP_1) | instid1(VALU_DEP_2)
	v_cvt_f32_f16_e32 v24, v10
	s_wait_xcnt 0x0
	v_div_fixup_f16 v1, v11, v22, v1
	s_delay_alu instid0(VALU_DEP_2) | instskip(SKIP_1) | instid1(VALU_DEP_2)
	v_rcp_f32_e32 v11, v24
	v_nop
	v_cvt_f32_f16_e32 v24, v1
	s_delay_alu instid0(TRANS32_DEP_1) | instid1(VALU_DEP_1)
	v_mul_f32_e32 v24, v24, v11
	s_delay_alu instid0(VALU_DEP_1) | instskip(NEXT) | instid1(VALU_DEP_1)
	v_fma_mix_f32 v25, -v10, v24, v1 op_sel_hi:[1,0,1]
	v_fmac_f32_e32 v24, v25, v11
	s_delay_alu instid0(VALU_DEP_1) | instskip(NEXT) | instid1(VALU_DEP_1)
	v_fma_mix_f32 v25, -v10, v24, v1 op_sel_hi:[1,0,1]
	v_mul_f32_e32 v11, v25, v11
	s_delay_alu instid0(VALU_DEP_1) | instskip(NEXT) | instid1(VALU_DEP_1)
	v_and_b32_e32 v11, 0xff800000, v11
	v_add_f32_e32 v11, v11, v24
	s_delay_alu instid0(VALU_DEP_1) | instskip(NEXT) | instid1(VALU_DEP_1)
	v_cvt_f16_f32_e32 v11, v11
	v_div_fixup_f16 v1, v11, v10, v1
	s_delay_alu instid0(VALU_DEP_1)
	v_add_f16_e32 v21, v21, v1
	global_store_b16 v[6:7], v21, off
	s_wait_xcnt 0x0
	s_and_not1_b32 exec_lo, exec_lo, s51
	s_cbranch_execz .LBB17_16
.LBB17_24:                              ;   Parent Loop BB17_3 Depth=1
                                        ;     Parent Loop BB17_10 Depth=2
                                        ;       Parent Loop BB17_17 Depth=3
                                        ; =>      This Inner Loop Header: Depth=4
	s_delay_alu instid0(VALU_DEP_2) | instskip(SKIP_2) | instid1(VALU_DEP_1)
	v_or_b32_e32 v1, s19, v9
                                        ; implicit-def: $vgpr10_vgpr11
	s_mov_b32 s3, exec_lo
	s_wait_xcnt 0x0
	v_cmpx_ne_u64_e32 0, v[0:1]
	s_xor_b32 s52, exec_lo, s3
	s_cbranch_execz .LBB17_26
; %bb.25:                               ;   in Loop: Header=BB17_24 Depth=4
	s_ashr_i32 s36, s19, 31
	v_dual_mov_b32 v27, v0 :: v_dual_ashrrev_i32 v10, 31, v9
	s_mov_b32 s37, s36
	s_delay_alu instid0(SALU_CYCLE_1) | instskip(NEXT) | instid1(VALU_DEP_1)
	s_add_nc_u64 s[38:39], s[18:19], s[36:37]
	v_mov_b32_e32 v11, v10
	s_xor_b64 s[38:39], s[38:39], s[36:37]
	s_delay_alu instid0(SALU_CYCLE_1)
	s_cvt_f32_u32 s3, s38
	s_cvt_f32_u32 s8, s39
	s_sub_nc_u64 s[56:57], 0, s[38:39]
	v_add_nc_u64_e32 v[24:25], v[8:9], v[10:11]
	v_mov_b32_e32 v31, v0
	s_fmamk_f32 s3, s8, 0x4f800000, s3
	s_delay_alu instid0(SALU_CYCLE_3) | instskip(NEXT) | instid1(VALU_DEP_2)
	v_s_rcp_f32 s3, s3
	v_xor_b32_e32 v26, v24, v10
	s_delay_alu instid0(VALU_DEP_3) | instskip(SKIP_1) | instid1(TRANS32_DEP_1)
	v_dual_mov_b32 v35, v0 :: v_dual_bitop2_b32 v30, v25, v10 bitop3:0x14
	v_xor_b32_e32 v10, s36, v10
	s_mul_f32 s3, s3, 0x5f7ffffc
	s_delay_alu instid0(SALU_CYCLE_3) | instskip(NEXT) | instid1(SALU_CYCLE_3)
	s_mul_f32 s8, s3, 0x2f800000
	s_trunc_f32 s8, s8
	s_delay_alu instid0(SALU_CYCLE_3) | instskip(SKIP_1) | instid1(SALU_CYCLE_2)
	s_fmamk_f32 s3, s8, 0xcf800000, s3
	s_cvt_u32_f32 s55, s8
	s_cvt_u32_f32 s54, s3
	s_delay_alu instid0(SALU_CYCLE_3) | instskip(NEXT) | instid1(SALU_CYCLE_1)
	s_mul_u64 s[58:59], s[56:57], s[54:55]
	s_mul_hi_u32 s61, s54, s59
	s_mul_i32 s60, s54, s59
	s_mul_hi_u32 s8, s54, s58
	s_mul_i32 s37, s55, s58
	s_add_nc_u64 s[60:61], s[8:9], s[60:61]
	s_mul_hi_u32 s3, s55, s58
	s_mul_hi_u32 s53, s55, s59
	s_add_co_u32 s8, s60, s37
	s_add_co_ci_u32 s8, s61, s3
	s_mul_i32 s58, s55, s59
	s_add_co_ci_u32 s59, s53, 0
	s_delay_alu instid0(SALU_CYCLE_1) | instskip(NEXT) | instid1(SALU_CYCLE_1)
	s_add_nc_u64 s[58:59], s[8:9], s[58:59]
	s_add_co_u32 s54, s54, s58
	s_cselect_b32 s3, -1, 0
	s_delay_alu instid0(SALU_CYCLE_1) | instskip(SKIP_1) | instid1(SALU_CYCLE_1)
	s_cmp_lg_u32 s3, 0
	s_add_co_ci_u32 s55, s55, s59
	s_mul_u64 s[56:57], s[56:57], s[54:55]
	s_delay_alu instid0(SALU_CYCLE_1)
	s_mul_hi_u32 s59, s54, s57
	s_mul_i32 s58, s54, s57
	s_mul_hi_u32 s8, s54, s56
	s_mul_i32 s37, s55, s56
	s_add_nc_u64 s[58:59], s[8:9], s[58:59]
	s_mul_hi_u32 s3, s55, s56
	s_mul_hi_u32 s53, s55, s57
	s_add_co_u32 s8, s58, s37
	s_add_co_ci_u32 s8, s59, s3
	s_mul_i32 s56, s55, s57
	s_add_co_ci_u32 s57, s53, 0
	s_delay_alu instid0(SALU_CYCLE_1) | instskip(NEXT) | instid1(SALU_CYCLE_1)
	s_add_nc_u64 s[56:57], s[8:9], s[56:57]
	s_add_co_u32 s54, s54, s56
	s_cselect_b32 s3, -1, 0
	v_mul_hi_u32 v34, v26, s54
	s_cmp_lg_u32 s3, 0
	s_add_co_ci_u32 s8, s55, s57
	s_and_b64 s[56:57], s[54:55], s[30:31]
	v_mul_u64_e32 v[28:29], s[8:9], v[26:27]
	v_mul_u64_e32 v[24:25], s[56:57], v[30:31]
	;; [unrolled: 1-line block ×3, first 2 shown]
	s_delay_alu instid0(VALU_DEP_3) | instskip(NEXT) | instid1(VALU_DEP_1)
	v_add_nc_u64_e32 v[28:29], v[34:35], v[28:29]
	v_add_co_u32 v1, vcc_lo, v28, v24
	s_delay_alu instid0(VALU_DEP_2) | instskip(NEXT) | instid1(VALU_DEP_4)
	v_add_co_ci_u32_e32 v34, vcc_lo, v29, v25, vcc_lo
	v_add_co_ci_u32_e32 v33, vcc_lo, 0, v33, vcc_lo
	s_delay_alu instid0(VALU_DEP_1) | instskip(NEXT) | instid1(VALU_DEP_1)
	v_add_nc_u64_e32 v[24:25], v[34:35], v[32:33]
	v_mul_u64_e32 v[28:29], s[38:39], v[24:25]
	s_delay_alu instid0(VALU_DEP_1) | instskip(NEXT) | instid1(VALU_DEP_2)
	v_sub_nc_u32_e32 v1, v30, v29
	v_sub_co_u32 v11, vcc_lo, v26, v28
	s_delay_alu instid0(VALU_DEP_1) | instskip(NEXT) | instid1(VALU_DEP_3)
	v_sub_co_ci_u32_e64 v30, null, v30, v29, vcc_lo
	v_subrev_co_ci_u32_e64 v1, null, s39, v1, vcc_lo
	s_delay_alu instid0(VALU_DEP_3) | instskip(SKIP_1) | instid1(VALU_DEP_3)
	v_sub_co_u32 v26, s3, v11, s38
	v_add_nc_u64_e32 v[28:29], 1, v[24:25]
	v_subrev_co_ci_u32_e64 v1, null, 0, v1, s3
	s_delay_alu instid0(VALU_DEP_3) | instskip(SKIP_1) | instid1(VALU_DEP_3)
	v_cmp_le_u32_e32 vcc_lo, s38, v26
	v_cndmask_b32_e64 v26, 0, -1, vcc_lo
	v_cmp_le_u32_e32 vcc_lo, s39, v1
	v_cndmask_b32_e64 v27, 0, -1, vcc_lo
	;; [unrolled: 2-line block ×4, first 2 shown]
	v_cmp_eq_u32_e32 vcc_lo, s39, v1
	v_cndmask_b32_e32 v1, v27, v26, vcc_lo
	v_cmp_eq_u32_e32 vcc_lo, s39, v30
	v_add_nc_u64_e32 v[26:27], 2, v[24:25]
	v_cndmask_b32_e32 v11, v31, v11, vcc_lo
	s_delay_alu instid0(VALU_DEP_4) | instskip(NEXT) | instid1(VALU_DEP_2)
	v_cmp_ne_u32_e32 vcc_lo, 0, v1
	v_cmp_ne_u32_e64 s3, 0, v11
	s_delay_alu instid0(VALU_DEP_4) | instskip(NEXT) | instid1(VALU_DEP_1)
	v_dual_cndmask_b32 v1, v29, v27, vcc_lo :: v_dual_cndmask_b32 v11, v28, v26, vcc_lo
	v_dual_cndmask_b32 v24, v24, v11, s3 :: v_dual_mov_b32 v11, v10
	s_delay_alu instid0(VALU_DEP_1) | instskip(NEXT) | instid1(VALU_DEP_1)
	v_dual_cndmask_b32 v1, v25, v1, s3 :: v_dual_bitop2_b32 v24, v24, v10 bitop3:0x14
	v_xor_b32_e32 v25, v1, v10
	s_delay_alu instid0(VALU_DEP_1)
	v_sub_nc_u64_e32 v[10:11], v[24:25], v[10:11]
.LBB17_26:                              ;   in Loop: Header=BB17_24 Depth=4
	s_and_not1_saveexec_b32 s3, s52
	s_cbranch_execz .LBB17_23
; %bb.27:                               ;   in Loop: Header=BB17_24 Depth=4
	v_cvt_f32_u32_e32 v1, s18
	s_sub_co_i32 s8, 0, s18
	s_delay_alu instid0(VALU_DEP_1) | instskip(SKIP_1) | instid1(TRANS32_DEP_1)
	v_rcp_iflag_f32_e32 v1, v1
	v_nop
	v_mul_f32_e32 v1, 0x4f7ffffe, v1
	s_delay_alu instid0(VALU_DEP_1) | instskip(NEXT) | instid1(VALU_DEP_1)
	v_cvt_u32_f32_e32 v1, v1
	v_mul_lo_u32 v10, s8, v1
	s_delay_alu instid0(VALU_DEP_1) | instskip(NEXT) | instid1(VALU_DEP_1)
	v_mul_hi_u32 v10, v1, v10
	v_add_nc_u32_e32 v1, v1, v10
	s_delay_alu instid0(VALU_DEP_1) | instskip(NEXT) | instid1(VALU_DEP_1)
	v_mul_hi_u32 v1, v8, v1
	v_mul_lo_u32 v10, v1, s18
	s_delay_alu instid0(VALU_DEP_1) | instskip(NEXT) | instid1(VALU_DEP_1)
	v_dual_add_nc_u32 v11, 1, v1 :: v_dual_sub_nc_u32 v10, v8, v10
	v_subrev_nc_u32_e32 v24, s18, v10
	v_cmp_le_u32_e32 vcc_lo, s18, v10
	s_delay_alu instid0(VALU_DEP_2) | instskip(NEXT) | instid1(VALU_DEP_1)
	v_dual_cndmask_b32 v10, v10, v24 :: v_dual_cndmask_b32 v1, v1, v11
	v_cmp_le_u32_e32 vcc_lo, s18, v10
	s_delay_alu instid0(VALU_DEP_2) | instskip(NEXT) | instid1(VALU_DEP_1)
	v_add_nc_u32_e32 v11, 1, v1
	v_cndmask_b32_e32 v10, v1, v11, vcc_lo
	s_branch .LBB17_23
.LBB17_28:
	s_endpgm
	.section	.rodata,"a",@progbits
	.p2align	6, 0x0
	.amdhsa_kernel _ZN2at6native12_GLOBAL__N_126adaptive_average_gradinputIN3c104HalfEEEvPT_PKS5_iiii
		.amdhsa_group_segment_fixed_size 0
		.amdhsa_private_segment_fixed_size 0
		.amdhsa_kernarg_size 288
		.amdhsa_user_sgpr_count 2
		.amdhsa_user_sgpr_dispatch_ptr 0
		.amdhsa_user_sgpr_queue_ptr 0
		.amdhsa_user_sgpr_kernarg_segment_ptr 1
		.amdhsa_user_sgpr_dispatch_id 0
		.amdhsa_user_sgpr_kernarg_preload_length 0
		.amdhsa_user_sgpr_kernarg_preload_offset 0
		.amdhsa_user_sgpr_private_segment_size 0
		.amdhsa_wavefront_size32 1
		.amdhsa_uses_dynamic_stack 0
		.amdhsa_enable_private_segment 0
		.amdhsa_system_sgpr_workgroup_id_x 1
		.amdhsa_system_sgpr_workgroup_id_y 1
		.amdhsa_system_sgpr_workgroup_id_z 0
		.amdhsa_system_sgpr_workgroup_info 0
		.amdhsa_system_vgpr_workitem_id 1
		.amdhsa_next_free_vgpr 36
		.amdhsa_next_free_sgpr 62
		.amdhsa_named_barrier_count 0
		.amdhsa_reserve_vcc 1
		.amdhsa_float_round_mode_32 0
		.amdhsa_float_round_mode_16_64 0
		.amdhsa_float_denorm_mode_32 3
		.amdhsa_float_denorm_mode_16_64 3
		.amdhsa_fp16_overflow 0
		.amdhsa_memory_ordered 1
		.amdhsa_forward_progress 1
		.amdhsa_inst_pref_size 40
		.amdhsa_round_robin_scheduling 0
		.amdhsa_exception_fp_ieee_invalid_op 0
		.amdhsa_exception_fp_denorm_src 0
		.amdhsa_exception_fp_ieee_div_zero 0
		.amdhsa_exception_fp_ieee_overflow 0
		.amdhsa_exception_fp_ieee_underflow 0
		.amdhsa_exception_fp_ieee_inexact 0
		.amdhsa_exception_int_div_zero 0
	.end_amdhsa_kernel
	.section	.text._ZN2at6native12_GLOBAL__N_126adaptive_average_gradinputIN3c104HalfEEEvPT_PKS5_iiii,"axG",@progbits,_ZN2at6native12_GLOBAL__N_126adaptive_average_gradinputIN3c104HalfEEEvPT_PKS5_iiii,comdat
.Lfunc_end17:
	.size	_ZN2at6native12_GLOBAL__N_126adaptive_average_gradinputIN3c104HalfEEEvPT_PKS5_iiii, .Lfunc_end17-_ZN2at6native12_GLOBAL__N_126adaptive_average_gradinputIN3c104HalfEEEvPT_PKS5_iiii
                                        ; -- End function
	.set _ZN2at6native12_GLOBAL__N_126adaptive_average_gradinputIN3c104HalfEEEvPT_PKS5_iiii.num_vgpr, 36
	.set _ZN2at6native12_GLOBAL__N_126adaptive_average_gradinputIN3c104HalfEEEvPT_PKS5_iiii.num_agpr, 0
	.set _ZN2at6native12_GLOBAL__N_126adaptive_average_gradinputIN3c104HalfEEEvPT_PKS5_iiii.numbered_sgpr, 62
	.set _ZN2at6native12_GLOBAL__N_126adaptive_average_gradinputIN3c104HalfEEEvPT_PKS5_iiii.num_named_barrier, 0
	.set _ZN2at6native12_GLOBAL__N_126adaptive_average_gradinputIN3c104HalfEEEvPT_PKS5_iiii.private_seg_size, 0
	.set _ZN2at6native12_GLOBAL__N_126adaptive_average_gradinputIN3c104HalfEEEvPT_PKS5_iiii.uses_vcc, 1
	.set _ZN2at6native12_GLOBAL__N_126adaptive_average_gradinputIN3c104HalfEEEvPT_PKS5_iiii.uses_flat_scratch, 0
	.set _ZN2at6native12_GLOBAL__N_126adaptive_average_gradinputIN3c104HalfEEEvPT_PKS5_iiii.has_dyn_sized_stack, 0
	.set _ZN2at6native12_GLOBAL__N_126adaptive_average_gradinputIN3c104HalfEEEvPT_PKS5_iiii.has_recursion, 0
	.set _ZN2at6native12_GLOBAL__N_126adaptive_average_gradinputIN3c104HalfEEEvPT_PKS5_iiii.has_indirect_call, 0
	.section	.AMDGPU.csdata,"",@progbits
; Kernel info:
; codeLenInByte = 5064
; TotalNumSgprs: 64
; NumVgprs: 36
; ScratchSize: 0
; MemoryBound: 0
; FloatMode: 240
; IeeeMode: 1
; LDSByteSize: 0 bytes/workgroup (compile time only)
; SGPRBlocks: 0
; VGPRBlocks: 2
; NumSGPRsForWavesPerEU: 64
; NumVGPRsForWavesPerEU: 36
; NamedBarCnt: 0
; Occupancy: 16
; WaveLimiterHint : 0
; COMPUTE_PGM_RSRC2:SCRATCH_EN: 0
; COMPUTE_PGM_RSRC2:USER_SGPR: 2
; COMPUTE_PGM_RSRC2:TRAP_HANDLER: 0
; COMPUTE_PGM_RSRC2:TGID_X_EN: 1
; COMPUTE_PGM_RSRC2:TGID_Y_EN: 1
; COMPUTE_PGM_RSRC2:TGID_Z_EN: 0
; COMPUTE_PGM_RSRC2:TIDIG_COMP_CNT: 1
	.section	.text._ZN2at6native12_GLOBAL__N_133atomic_adaptive_average_gradinputIN3c108BFloat16EEEvPT_PKS5_iiii,"axG",@progbits,_ZN2at6native12_GLOBAL__N_133atomic_adaptive_average_gradinputIN3c108BFloat16EEEvPT_PKS5_iiii,comdat
	.globl	_ZN2at6native12_GLOBAL__N_133atomic_adaptive_average_gradinputIN3c108BFloat16EEEvPT_PKS5_iiii ; -- Begin function _ZN2at6native12_GLOBAL__N_133atomic_adaptive_average_gradinputIN3c108BFloat16EEEvPT_PKS5_iiii
	.p2align	8
	.type	_ZN2at6native12_GLOBAL__N_133atomic_adaptive_average_gradinputIN3c108BFloat16EEEvPT_PKS5_iiii,@function
_ZN2at6native12_GLOBAL__N_133atomic_adaptive_average_gradinputIN3c108BFloat16EEEvPT_PKS5_iiii: ; @_ZN2at6native12_GLOBAL__N_133atomic_adaptive_average_gradinputIN3c108BFloat16EEEvPT_PKS5_iiii
; %bb.0:
	s_clause 0x1
	s_load_b32 s2, s[0:1], 0x2c
	s_load_b128 s[4:7], s[0:1], 0x10
	s_bfe_u32 s3, ttmp6, 0x40010
	s_bfe_u32 s8, ttmp6, 0x40004
	s_add_co_i32 s3, s3, 1
	s_getreg_b32 s12, hwreg(HW_REG_IB_STS2, 6, 4)
	s_mul_i32 s3, ttmp7, s3
	v_bfe_u32 v1, v0, 10, 10
	s_add_co_i32 s8, s8, s3
	s_mov_b32 s13, 0
	s_wait_kmcnt 0x0
	s_lshr_b32 s3, s2, 16
	s_cmp_eq_u32 s12, 0
	s_cselect_b32 s8, ttmp7, s8
	s_delay_alu instid0(SALU_CYCLE_1) | instskip(SKIP_1) | instid1(VALU_DEP_1)
	v_mad_u32 v14, s8, s3, v1
	s_mov_b32 s8, exec_lo
	v_cmpx_gt_i32_e64 s6, v14
	s_cbranch_execz .LBB18_22
; %bb.1:
	s_load_b128 s[8:11], s[0:1], 0x0
	s_bfe_u32 s14, ttmp6, 0x4000c
	s_and_b32 s15, ttmp6, 15
	s_add_co_i32 s14, s14, 1
	s_wait_xcnt 0x0
	s_add_nc_u64 s[0:1], s[0:1], 32
	s_mul_i32 s14, ttmp9, s14
	s_load_b32 s35, s[0:1], 0x4
	s_add_co_i32 s15, s15, s14
	s_cmp_eq_u32 s12, 0
	s_mov_b32 s14, s6
	s_wait_xcnt 0x0
	s_cselect_b32 s1, ttmp9, s15
	v_cvt_f32_u32_e32 v1, s14
	s_mul_i32 s0, s6, s1
	s_mul_i32 s12, s4, s1
	;; [unrolled: 1-line block ×4, first 2 shown]
	s_ashr_i32 s1, s0, 31
	v_rcp_iflag_f32_e32 v1, v1
	s_lshl_b64 s[0:1], s[0:1], 1
	s_ashr_i32 s17, s16, 31
	s_wait_kmcnt 0x0
	s_add_nc_u64 s[10:11], s[10:11], s[0:1]
	s_lshl_b64 s[0:1], s[16:17], 1
	s_abs_i32 s34, s7
	s_add_nc_u64 s[8:9], s[8:9], s[0:1]
	s_cvt_f32_u32 s0, s34
	v_and_b32_e32 v15, 0x3ff, v0
	v_mul_f32_e32 v0, 0x4f7ffffe, v1
	s_abs_i32 s33, s6
	v_rcp_iflag_f32_e32 v1, s0
	s_cvt_f32_u32 s12, s33
	s_and_b32 s36, s2, 0xffff
	v_cvt_u32_f32_e32 v0, v0
	s_sub_co_i32 s2, 0, s6
	v_rcp_iflag_f32_e32 v2, s12
	s_mul_i32 s35, s35, s3
	v_readfirstlane_b32 s3, v1
	v_mul_lo_u32 v1, s2, v0
	s_sub_co_i32 s12, 0, s34
	v_cmp_gt_i32_e64 s0, s7, v15
	s_ashr_i32 s15, s6, 31
	v_readfirstlane_b32 s1, v2
	s_mul_f32 s2, s3, 0x4f7ffffe
	s_sub_co_i32 s3, 0, s33
	s_ashr_i32 s19, s7, 31
	s_ashr_i32 s17, s5, 31
	s_mul_f32 s1, s1, 0x4f7ffffe
	s_cvt_u32_f32 s2, s2
	v_mul_hi_u32 v2, v0, v1
	v_mov_b32_e32 v1, 0
	s_cvt_u32_f32 s1, s1
	s_mul_i32 s12, s12, s2
	s_mov_b32 s16, s5
	s_mov_b32 s18, s7
	s_mul_i32 s3, s3, s1
	s_mov_b32 s21, s13
	s_mul_hi_u32 s3, s1, s3
	s_mov_b32 s23, s13
	s_add_co_i32 s20, s1, s3
	v_add_nc_u32_e32 v16, v0, v2
	s_mul_hi_u32 s1, s2, s12
	s_mov_b64 s[24:25], 0xffffffff
	s_add_co_i32 s22, s2, s1
	s_ashr_i32 s26, s15, 31
	s_ashr_i32 s28, s19, 31
	s_mov_b32 s37, 0
	s_branch .LBB18_3
.LBB18_2:                               ;   in Loop: Header=BB18_3 Depth=1
	s_or_b32 exec_lo, exec_lo, s27
	v_add_nc_u32_e32 v14, s35, v14
	s_delay_alu instid0(VALU_DEP_1) | instskip(SKIP_1) | instid1(SALU_CYCLE_1)
	v_cmp_le_i32_e32 vcc_lo, s6, v14
	s_or_b32 s37, vcc_lo, s37
	s_and_not1_b32 exec_lo, exec_lo, s37
	s_cbranch_execz .LBB18_22
.LBB18_3:                               ; =>This Loop Header: Depth=1
                                        ;     Child Loop BB18_10 Depth 2
                                        ;       Child Loop BB18_17 Depth 3
                                        ;         Child Loop BB18_19 Depth 4
                                        ;           Child Loop BB18_20 Depth 5
	v_dual_add_nc_u32 v0, 1, v14 :: v_dual_mov_b32 v4, v1
	s_delay_alu instid0(VALU_DEP_1) | instskip(NEXT) | instid1(VALU_DEP_1)
	v_mad_nc_i64_i32 v[2:3], v0, s4, -1
	v_or_b32_e32 v5, s15, v3
	s_delay_alu instid0(VALU_DEP_1) | instskip(SKIP_1) | instid1(SALU_CYCLE_1)
	v_cmp_ne_u64_e32 vcc_lo, 0, v[4:5]
                                        ; implicit-def: $vgpr4_vgpr5
	s_and_saveexec_b32 s1, vcc_lo
	s_xor_b32 s29, exec_lo, s1
	s_cbranch_execnz .LBB18_6
; %bb.4:                                ;   in Loop: Header=BB18_3 Depth=1
	s_and_not1_saveexec_b32 s1, s29
	s_cbranch_execnz .LBB18_7
.LBB18_5:                               ;   in Loop: Header=BB18_3 Depth=1
	s_or_b32 exec_lo, exec_lo, s1
	s_and_saveexec_b32 s27, s0
	s_cbranch_execz .LBB18_2
	s_branch .LBB18_8
.LBB18_6:                               ;   in Loop: Header=BB18_3 Depth=1
	s_mov_b32 s27, s26
	v_dual_mov_b32 v9, v1 :: v_dual_ashrrev_i32 v4, 31, v3
	s_add_nc_u64 s[2:3], s[14:15], s[26:27]
	v_mov_b32_e32 v13, v1
	s_xor_b64 s[2:3], s[2:3], s[26:27]
	s_delay_alu instid0(VALU_DEP_2) | instskip(SKIP_3) | instid1(VALU_DEP_1)
	v_mov_b32_e32 v5, v4
	s_cvt_f32_u32 s1, s2
	s_cvt_f32_u32 s12, s3
	s_sub_nc_u64 s[38:39], 0, s[2:3]
	v_add_nc_u64_e32 v[2:3], v[2:3], v[4:5]
	s_delay_alu instid0(SALU_CYCLE_1) | instskip(NEXT) | instid1(SALU_CYCLE_3)
	s_fmamk_f32 s1, s12, 0x4f800000, s1
	v_s_rcp_f32 s1, s1
	s_delay_alu instid0(VALU_DEP_1) | instskip(NEXT) | instid1(VALU_DEP_2)
	v_xor_b32_e32 v0, v2, v4
	v_xor_b32_e32 v8, v3, v4
	;; [unrolled: 1-line block ×3, first 2 shown]
	s_delay_alu instid0(TRANS32_DEP_1) | instskip(NEXT) | instid1(SALU_CYCLE_3)
	s_mul_f32 s1, s1, 0x5f7ffffc
	s_mul_f32 s12, s1, 0x2f800000
	s_delay_alu instid0(SALU_CYCLE_3) | instskip(NEXT) | instid1(SALU_CYCLE_3)
	s_trunc_f32 s12, s12
	s_fmamk_f32 s1, s12, 0xcf800000, s1
	s_cvt_u32_f32 s31, s12
	s_delay_alu instid0(SALU_CYCLE_2) | instskip(NEXT) | instid1(SALU_CYCLE_3)
	s_cvt_u32_f32 s30, s1
	s_mul_u64 s[40:41], s[38:39], s[30:31]
	s_delay_alu instid0(SALU_CYCLE_1)
	s_mul_hi_u32 s43, s30, s41
	s_mul_i32 s42, s30, s41
	s_mul_hi_u32 s12, s30, s40
	s_mul_i32 s27, s31, s40
	s_add_nc_u64 s[42:43], s[12:13], s[42:43]
	s_mul_hi_u32 s1, s31, s40
	s_mul_hi_u32 s44, s31, s41
	s_add_co_u32 s12, s42, s27
	s_add_co_ci_u32 s12, s43, s1
	s_mul_i32 s40, s31, s41
	s_add_co_ci_u32 s41, s44, 0
	s_delay_alu instid0(SALU_CYCLE_1) | instskip(NEXT) | instid1(SALU_CYCLE_1)
	s_add_nc_u64 s[40:41], s[12:13], s[40:41]
	s_add_co_u32 s30, s30, s40
	s_cselect_b32 s1, -1, 0
	s_delay_alu instid0(SALU_CYCLE_1) | instskip(SKIP_1) | instid1(SALU_CYCLE_1)
	s_cmp_lg_u32 s1, 0
	s_add_co_ci_u32 s31, s31, s41
	s_mul_u64 s[38:39], s[38:39], s[30:31]
	s_delay_alu instid0(SALU_CYCLE_1)
	s_mul_hi_u32 s41, s30, s39
	s_mul_i32 s40, s30, s39
	s_mul_hi_u32 s12, s30, s38
	s_mul_i32 s27, s31, s38
	s_add_nc_u64 s[40:41], s[12:13], s[40:41]
	s_mul_hi_u32 s1, s31, s38
	s_mul_hi_u32 s42, s31, s39
	s_add_co_u32 s12, s40, s27
	s_add_co_ci_u32 s12, s41, s1
	s_mul_i32 s38, s31, s39
	s_add_co_ci_u32 s39, s42, 0
	s_delay_alu instid0(SALU_CYCLE_1) | instskip(NEXT) | instid1(SALU_CYCLE_1)
	s_add_nc_u64 s[38:39], s[12:13], s[38:39]
	s_add_co_u32 s30, s30, s38
	s_cselect_b32 s1, -1, 0
	v_mul_hi_u32 v12, v0, s30
	s_cmp_lg_u32 s1, 0
	s_add_co_ci_u32 s12, s31, s39
	s_and_b64 s[38:39], s[30:31], s[24:25]
	v_mul_u64_e32 v[6:7], s[12:13], v[0:1]
	v_mul_u64_e32 v[2:3], s[38:39], v[8:9]
	;; [unrolled: 1-line block ×3, first 2 shown]
	s_delay_alu instid0(VALU_DEP_3) | instskip(NEXT) | instid1(VALU_DEP_1)
	v_add_nc_u64_e32 v[6:7], v[12:13], v[6:7]
	v_add_co_u32 v2, vcc_lo, v6, v2
	s_delay_alu instid0(VALU_DEP_2) | instskip(NEXT) | instid1(VALU_DEP_4)
	v_add_co_ci_u32_e32 v12, vcc_lo, v7, v3, vcc_lo
	v_add_co_ci_u32_e32 v11, vcc_lo, 0, v11, vcc_lo
	s_delay_alu instid0(VALU_DEP_1) | instskip(NEXT) | instid1(VALU_DEP_1)
	v_add_nc_u64_e32 v[2:3], v[12:13], v[10:11]
	v_mul_u64_e32 v[6:7], s[2:3], v[2:3]
	s_delay_alu instid0(VALU_DEP_1) | instskip(NEXT) | instid1(VALU_DEP_2)
	v_sub_nc_u32_e32 v5, v8, v7
	v_sub_co_u32 v0, vcc_lo, v0, v6
	s_delay_alu instid0(VALU_DEP_1) | instskip(NEXT) | instid1(VALU_DEP_3)
	v_sub_co_ci_u32_e64 v10, null, v8, v7, vcc_lo
	v_subrev_co_ci_u32_e64 v5, null, s3, v5, vcc_lo
	s_delay_alu instid0(VALU_DEP_3) | instskip(SKIP_1) | instid1(VALU_DEP_3)
	v_sub_co_u32 v6, s1, v0, s2
	v_add_nc_u64_e32 v[8:9], 1, v[2:3]
	v_subrev_co_ci_u32_e64 v5, null, 0, v5, s1
	s_delay_alu instid0(VALU_DEP_3) | instskip(SKIP_1) | instid1(VALU_DEP_3)
	v_cmp_le_u32_e32 vcc_lo, s2, v6
	v_cndmask_b32_e64 v6, 0, -1, vcc_lo
	v_cmp_le_u32_e32 vcc_lo, s3, v5
	v_cndmask_b32_e64 v7, 0, -1, vcc_lo
	;; [unrolled: 2-line block ×4, first 2 shown]
	v_cmp_eq_u32_e32 vcc_lo, s3, v5
	v_cndmask_b32_e32 v5, v7, v6, vcc_lo
	v_cmp_eq_u32_e32 vcc_lo, s3, v10
	v_add_nc_u64_e32 v[6:7], 2, v[2:3]
	v_cndmask_b32_e32 v0, v11, v0, vcc_lo
	s_delay_alu instid0(VALU_DEP_4) | instskip(NEXT) | instid1(VALU_DEP_2)
	v_cmp_ne_u32_e32 vcc_lo, 0, v5
	v_cmp_ne_u32_e64 s1, 0, v0
	s_delay_alu instid0(VALU_DEP_4) | instskip(NEXT) | instid1(VALU_DEP_1)
	v_dual_cndmask_b32 v5, v9, v7 :: v_dual_cndmask_b32 v0, v8, v6
	v_dual_cndmask_b32 v3, v3, v5, s1 :: v_dual_cndmask_b32 v0, v2, v0, s1
	s_delay_alu instid0(VALU_DEP_1) | instskip(NEXT) | instid1(VALU_DEP_2)
	v_dual_mov_b32 v5, v4 :: v_dual_bitop2_b32 v3, v3, v4 bitop3:0x14
	v_xor_b32_e32 v2, v0, v4
	s_delay_alu instid0(VALU_DEP_1)
	v_sub_nc_u64_e32 v[4:5], v[2:3], v[4:5]
                                        ; implicit-def: $vgpr2_vgpr3
	s_and_not1_saveexec_b32 s1, s29
	s_cbranch_execz .LBB18_5
.LBB18_7:                               ;   in Loop: Header=BB18_3 Depth=1
	s_delay_alu instid0(VALU_DEP_3) | instskip(NEXT) | instid1(VALU_DEP_1)
	v_mul_hi_u32 v0, v2, v16
	v_mul_lo_u32 v3, v0, s14
	s_delay_alu instid0(VALU_DEP_1) | instskip(NEXT) | instid1(VALU_DEP_1)
	v_dual_sub_nc_u32 v2, v2, v3 :: v_dual_add_nc_u32 v3, 1, v0
	v_subrev_nc_u32_e32 v4, s14, v2
	v_cmp_le_u32_e32 vcc_lo, s14, v2
	s_delay_alu instid0(VALU_DEP_2) | instskip(NEXT) | instid1(VALU_DEP_1)
	v_dual_cndmask_b32 v2, v2, v4, vcc_lo :: v_dual_cndmask_b32 v0, v0, v3, vcc_lo
	v_cmp_le_u32_e32 vcc_lo, s14, v2
	s_delay_alu instid0(VALU_DEP_2) | instskip(NEXT) | instid1(VALU_DEP_1)
	v_add_nc_u32_e32 v3, 1, v0
	v_cndmask_b32_e32 v4, v0, v3, vcc_lo
	s_or_b32 exec_lo, exec_lo, s1
	s_and_saveexec_b32 s27, s0
	s_cbranch_execz .LBB18_2
.LBB18_8:                               ;   in Loop: Header=BB18_3 Depth=1
	v_sub_nc_u32_e32 v0, 0, v14
	s_mov_b32 s38, 0
	s_delay_alu instid0(VALU_DEP_1) | instskip(NEXT) | instid1(VALU_DEP_1)
	v_max_i32_e32 v0, v14, v0
	v_mul_u64_e32 v[2:3], s[20:21], v[0:1]
	s_delay_alu instid0(VALU_DEP_1) | instskip(NEXT) | instid1(VALU_DEP_1)
	v_mul_lo_u32 v2, v3, s33
	v_dual_sub_nc_u32 v0, v0, v2 :: v_dual_add_nc_u32 v2, 1, v3
	s_delay_alu instid0(VALU_DEP_1) | instskip(SKIP_1) | instid1(VALU_DEP_3)
	v_subrev_nc_u32_e32 v5, s33, v0
	v_cmp_le_u32_e32 vcc_lo, s33, v0
	v_cndmask_b32_e32 v2, v3, v2, vcc_lo
	s_delay_alu instid0(VALU_DEP_3) | instskip(NEXT) | instid1(VALU_DEP_2)
	v_dual_cndmask_b32 v0, v0, v5 :: v_dual_ashrrev_i32 v3, 31, v14
	v_add_nc_u32_e32 v5, 1, v2
	s_delay_alu instid0(VALU_DEP_2) | instskip(NEXT) | instid1(VALU_DEP_2)
	v_cmp_le_u32_e32 vcc_lo, s33, v0
	v_dual_cndmask_b32 v0, v2, v5, vcc_lo :: v_dual_bitop2_b32 v3, s15, v3 bitop3:0x14
	s_delay_alu instid0(VALU_DEP_1) | instskip(NEXT) | instid1(VALU_DEP_1)
	v_xor_b32_e32 v0, v0, v3
	v_sub_nc_u32_e32 v5, v0, v3
	s_delay_alu instid0(VALU_DEP_1) | instskip(NEXT) | instid1(VALU_DEP_1)
	v_mul_lo_u32 v0, v5, s6
	v_sub_nc_u32_e32 v0, v14, v0
	s_delay_alu instid0(VALU_DEP_1) | instskip(NEXT) | instid1(VALU_DEP_1)
	v_mul_lo_u32 v6, v0, s4
	v_sub_nc_u32_e32 v0, 0, v6
	s_delay_alu instid0(VALU_DEP_1) | instskip(NEXT) | instid1(VALU_DEP_1)
	v_max_i32_e32 v0, v6, v0
	v_mul_u64_e32 v[2:3], s[20:21], v[0:1]
	s_delay_alu instid0(VALU_DEP_1) | instskip(NEXT) | instid1(VALU_DEP_1)
	v_mul_lo_u32 v2, v3, s33
	v_dual_sub_nc_u32 v0, v0, v2 :: v_dual_add_nc_u32 v2, 1, v3
	s_delay_alu instid0(VALU_DEP_1) | instskip(NEXT) | instid1(VALU_DEP_2)
	v_cmp_le_u32_e32 vcc_lo, s33, v0
	v_cndmask_b32_e32 v2, v3, v2, vcc_lo
	v_ashrrev_i32_e32 v3, 31, v6
	s_delay_alu instid0(VALU_DEP_2) | instskip(SKIP_1) | instid1(VALU_DEP_1)
	v_add_nc_u32_e32 v6, 1, v2
	v_subrev_nc_u32_e32 v7, s33, v0
	v_cndmask_b32_e32 v0, v0, v7, vcc_lo
	s_delay_alu instid0(VALU_DEP_1) | instskip(NEXT) | instid1(VALU_DEP_4)
	v_cmp_le_u32_e32 vcc_lo, s33, v0
	v_dual_cndmask_b32 v0, v2, v6, vcc_lo :: v_dual_bitop2_b32 v3, s15, v3 bitop3:0x14
	v_mul_lo_u32 v2, v14, s7
	s_delay_alu instid0(VALU_DEP_2) | instskip(NEXT) | instid1(VALU_DEP_1)
	v_xor_b32_e32 v0, v0, v3
	v_sub_nc_u32_e32 v0, v0, v3
	s_delay_alu instid0(VALU_DEP_1) | instskip(NEXT) | instid1(VALU_DEP_1)
	v_mad_u32 v0, v5, s4, v0
	v_sub_nc_u32_e32 v17, v4, v0
	v_mul_lo_u32 v4, v0, s5
	s_delay_alu instid0(VALU_DEP_2) | instskip(NEXT) | instid1(VALU_DEP_1)
	v_add_nc_u32_e32 v3, 1, v17
	v_cvt_f32_i32_e32 v0, v3
	s_delay_alu instid0(VALU_DEP_3) | instskip(NEXT) | instid1(VALU_DEP_2)
	v_dual_ashrrev_i32 v3, 31, v2 :: v_dual_ashrrev_i32 v5, 31, v4
	v_bfe_u32 v6, v0, 16, 1
	s_delay_alu instid0(VALU_DEP_2) | instskip(NEXT) | instid1(VALU_DEP_3)
	v_lshl_add_u64 v[2:3], v[2:3], 1, s[10:11]
	v_lshl_add_u64 v[4:5], v[4:5], 1, s[8:9]
	s_delay_alu instid0(VALU_DEP_3) | instskip(SKIP_2) | instid1(VALU_DEP_3)
	v_add3_u32 v0, v0, v6, 0x7fff
	v_mov_b32_e32 v6, v15
	v_cmp_gt_u32_e64 s1, 0x7fffffff, v17
	v_and_b32_e32 v18, 0xffff0000, v0
	s_branch .LBB18_10
.LBB18_9:                               ;   in Loop: Header=BB18_10 Depth=2
	s_or_b32 exec_lo, exec_lo, s29
	v_add_nc_u32_e32 v6, s36, v6
	s_delay_alu instid0(VALU_DEP_1) | instskip(SKIP_1) | instid1(SALU_CYCLE_1)
	v_cmp_le_i32_e32 vcc_lo, s7, v6
	s_or_b32 s38, vcc_lo, s38
	s_and_not1_b32 exec_lo, exec_lo, s38
	s_cbranch_execz .LBB18_2
.LBB18_10:                              ;   Parent Loop BB18_3 Depth=1
                                        ; =>  This Loop Header: Depth=2
                                        ;       Child Loop BB18_17 Depth 3
                                        ;         Child Loop BB18_19 Depth 4
                                        ;           Child Loop BB18_20 Depth 5
	s_delay_alu instid0(VALU_DEP_3) | instskip(NEXT) | instid1(VALU_DEP_1)
	v_dual_add_nc_u32 v0, 1, v6 :: v_dual_mov_b32 v10, v1
	v_mad_nc_u64_u32 v[8:9], v0, s16, -1
	s_delay_alu instid0(VALU_DEP_1) | instskip(NEXT) | instid1(VALU_DEP_1)
	v_mad_u32 v9, v0, s17, v9
	v_or_b32_e32 v11, s19, v9
	s_delay_alu instid0(VALU_DEP_1) | instskip(SKIP_1) | instid1(SALU_CYCLE_1)
	v_cmp_ne_u64_e32 vcc_lo, 0, v[10:11]
                                        ; implicit-def: $vgpr10_vgpr11
	s_and_saveexec_b32 s2, vcc_lo
	s_xor_b32 s3, exec_lo, s2
	s_cbranch_execnz .LBB18_13
; %bb.11:                               ;   in Loop: Header=BB18_10 Depth=2
	s_and_not1_saveexec_b32 s2, s3
	s_cbranch_execnz .LBB18_14
.LBB18_12:                              ;   in Loop: Header=BB18_10 Depth=2
	s_or_b32 exec_lo, exec_lo, s2
	v_mov_b32_e32 v7, v1
	s_and_saveexec_b32 s29, s1
	s_cbranch_execz .LBB18_9
	s_branch .LBB18_15
.LBB18_13:                              ;   in Loop: Header=BB18_10 Depth=2
	s_mov_b32 s29, s28
	v_dual_mov_b32 v21, v1 :: v_dual_ashrrev_i32 v10, 31, v9
	s_add_nc_u64 s[30:31], s[18:19], s[28:29]
	s_delay_alu instid0(SALU_CYCLE_1) | instskip(NEXT) | instid1(VALU_DEP_1)
	s_xor_b64 s[30:31], s[30:31], s[28:29]
	v_mov_b32_e32 v11, v10
	s_cvt_f32_u32 s2, s30
	s_cvt_f32_u32 s12, s31
	s_sub_nc_u64 s[42:43], 0, s[30:31]
	s_delay_alu instid0(VALU_DEP_1) | instskip(NEXT) | instid1(SALU_CYCLE_1)
	v_add_nc_u64_e32 v[8:9], v[8:9], v[10:11]
	s_fmamk_f32 s2, s12, 0x4f800000, s2
	s_delay_alu instid0(SALU_CYCLE_3) | instskip(NEXT) | instid1(VALU_DEP_1)
	v_s_rcp_f32 s2, s2
	v_xor_b32_e32 v0, v8, v10
	s_delay_alu instid0(VALU_DEP_2) | instskip(SKIP_1) | instid1(TRANS32_DEP_1)
	v_xor_b32_e32 v20, v9, v10
	v_dual_mov_b32 v25, v1 :: v_dual_bitop2_b32 v10, s28, v10 bitop3:0x14
	s_mul_f32 s2, s2, 0x5f7ffffc
	s_delay_alu instid0(SALU_CYCLE_3) | instskip(NEXT) | instid1(SALU_CYCLE_3)
	s_mul_f32 s12, s2, 0x2f800000
	s_trunc_f32 s12, s12
	s_delay_alu instid0(SALU_CYCLE_3) | instskip(SKIP_1) | instid1(SALU_CYCLE_2)
	s_fmamk_f32 s2, s12, 0xcf800000, s2
	s_cvt_u32_f32 s41, s12
	s_cvt_u32_f32 s40, s2
	s_delay_alu instid0(SALU_CYCLE_3) | instskip(NEXT) | instid1(SALU_CYCLE_1)
	s_mul_u64 s[44:45], s[42:43], s[40:41]
	s_mul_hi_u32 s47, s40, s45
	s_mul_i32 s46, s40, s45
	s_mul_hi_u32 s12, s40, s44
	s_mul_i32 s29, s41, s44
	s_add_nc_u64 s[46:47], s[12:13], s[46:47]
	s_mul_hi_u32 s2, s41, s44
	s_mul_hi_u32 s39, s41, s45
	s_add_co_u32 s12, s46, s29
	s_add_co_ci_u32 s12, s47, s2
	s_mul_i32 s44, s41, s45
	s_add_co_ci_u32 s45, s39, 0
	s_delay_alu instid0(SALU_CYCLE_1) | instskip(NEXT) | instid1(SALU_CYCLE_1)
	s_add_nc_u64 s[44:45], s[12:13], s[44:45]
	s_add_co_u32 s40, s40, s44
	s_cselect_b32 s2, -1, 0
	s_delay_alu instid0(SALU_CYCLE_1) | instskip(SKIP_1) | instid1(SALU_CYCLE_1)
	s_cmp_lg_u32 s2, 0
	s_add_co_ci_u32 s41, s41, s45
	s_mul_u64 s[42:43], s[42:43], s[40:41]
	s_delay_alu instid0(SALU_CYCLE_1)
	s_mul_hi_u32 s45, s40, s43
	s_mul_i32 s44, s40, s43
	s_mul_hi_u32 s12, s40, s42
	s_mul_i32 s29, s41, s42
	s_add_nc_u64 s[44:45], s[12:13], s[44:45]
	s_mul_hi_u32 s2, s41, s42
	s_mul_hi_u32 s39, s41, s43
	s_add_co_u32 s12, s44, s29
	s_add_co_ci_u32 s12, s45, s2
	s_mul_i32 s42, s41, s43
	s_add_co_ci_u32 s43, s39, 0
	s_delay_alu instid0(SALU_CYCLE_1) | instskip(NEXT) | instid1(SALU_CYCLE_1)
	s_add_nc_u64 s[42:43], s[12:13], s[42:43]
	s_add_co_u32 s2, s40, s42
	s_cselect_b32 s12, -1, 0
	v_mul_hi_u32 v24, v0, s2
	s_cmp_lg_u32 s12, 0
	s_add_co_ci_u32 s12, s41, s43
	s_and_b64 s[40:41], s[2:3], s[24:25]
	v_mul_u64_e32 v[12:13], s[12:13], v[0:1]
	v_mul_u64_e32 v[8:9], s[40:41], v[20:21]
	;; [unrolled: 1-line block ×3, first 2 shown]
	s_delay_alu instid0(VALU_DEP_3) | instskip(NEXT) | instid1(VALU_DEP_1)
	v_add_nc_u64_e32 v[12:13], v[24:25], v[12:13]
	v_add_co_u32 v7, vcc_lo, v12, v8
	s_delay_alu instid0(VALU_DEP_2) | instskip(NEXT) | instid1(VALU_DEP_4)
	v_add_co_ci_u32_e32 v24, vcc_lo, v13, v9, vcc_lo
	v_add_co_ci_u32_e32 v23, vcc_lo, 0, v23, vcc_lo
	s_delay_alu instid0(VALU_DEP_1) | instskip(NEXT) | instid1(VALU_DEP_1)
	v_add_nc_u64_e32 v[8:9], v[24:25], v[22:23]
	v_mul_u64_e32 v[12:13], s[30:31], v[8:9]
	s_delay_alu instid0(VALU_DEP_1) | instskip(NEXT) | instid1(VALU_DEP_2)
	v_sub_nc_u32_e32 v7, v20, v13
	v_sub_co_u32 v0, vcc_lo, v0, v12
	s_delay_alu instid0(VALU_DEP_1) | instskip(NEXT) | instid1(VALU_DEP_3)
	v_sub_co_ci_u32_e64 v19, null, v20, v13, vcc_lo
	v_subrev_co_ci_u32_e64 v7, null, s31, v7, vcc_lo
	s_delay_alu instid0(VALU_DEP_3) | instskip(SKIP_1) | instid1(VALU_DEP_3)
	v_sub_co_u32 v11, s2, v0, s30
	v_add_nc_u64_e32 v[20:21], 1, v[8:9]
	v_subrev_co_ci_u32_e64 v7, null, 0, v7, s2
	s_delay_alu instid0(VALU_DEP_3) | instskip(SKIP_1) | instid1(VALU_DEP_3)
	v_cmp_le_u32_e32 vcc_lo, s30, v11
	v_cndmask_b32_e64 v11, 0, -1, vcc_lo
	v_cmp_le_u32_e32 vcc_lo, s31, v7
	v_cndmask_b32_e64 v12, 0, -1, vcc_lo
	;; [unrolled: 2-line block ×4, first 2 shown]
	v_cmp_eq_u32_e32 vcc_lo, s31, v7
	v_cndmask_b32_e32 v7, v12, v11, vcc_lo
	v_cmp_eq_u32_e32 vcc_lo, s31, v19
	v_add_nc_u64_e32 v[12:13], 2, v[8:9]
	v_cndmask_b32_e32 v0, v22, v0, vcc_lo
	s_delay_alu instid0(VALU_DEP_4) | instskip(NEXT) | instid1(VALU_DEP_3)
	v_cmp_ne_u32_e32 vcc_lo, 0, v7
	v_cndmask_b32_e32 v7, v21, v13, vcc_lo
	s_delay_alu instid0(VALU_DEP_3) | instskip(NEXT) | instid1(VALU_DEP_1)
	v_cmp_ne_u32_e64 s2, 0, v0
	v_dual_cndmask_b32 v0, v20, v12, vcc_lo :: v_dual_cndmask_b32 v7, v9, v7, s2
	s_delay_alu instid0(VALU_DEP_1) | instskip(NEXT) | instid1(VALU_DEP_2)
	v_dual_cndmask_b32 v0, v8, v0, s2 :: v_dual_mov_b32 v11, v10
	v_xor_b32_e32 v9, v7, v10
	s_delay_alu instid0(VALU_DEP_2) | instskip(NEXT) | instid1(VALU_DEP_1)
	v_xor_b32_e32 v8, v0, v10
	v_sub_nc_u64_e32 v[10:11], v[8:9], v[10:11]
                                        ; implicit-def: $vgpr8_vgpr9
	s_and_not1_saveexec_b32 s2, s3
	s_cbranch_execz .LBB18_12
.LBB18_14:                              ;   in Loop: Header=BB18_10 Depth=2
	v_cvt_f32_u32_e32 v0, s18
	s_sub_co_i32 s3, 0, s18
	s_delay_alu instid0(VALU_DEP_1) | instskip(SKIP_1) | instid1(TRANS32_DEP_1)
	v_rcp_iflag_f32_e32 v0, v0
	v_nop
	v_mul_f32_e32 v0, 0x4f7ffffe, v0
	s_delay_alu instid0(VALU_DEP_1) | instskip(NEXT) | instid1(VALU_DEP_1)
	v_cvt_u32_f32_e32 v0, v0
	v_mul_lo_u32 v7, s3, v0
	s_delay_alu instid0(VALU_DEP_1) | instskip(NEXT) | instid1(VALU_DEP_1)
	v_mul_hi_u32 v7, v0, v7
	v_add_nc_u32_e32 v0, v0, v7
	s_delay_alu instid0(VALU_DEP_1) | instskip(NEXT) | instid1(VALU_DEP_1)
	v_mul_hi_u32 v0, v8, v0
	v_mul_lo_u32 v7, v0, s18
	s_delay_alu instid0(VALU_DEP_1) | instskip(NEXT) | instid1(VALU_DEP_1)
	v_dual_sub_nc_u32 v7, v8, v7 :: v_dual_add_nc_u32 v8, 1, v0
	v_subrev_nc_u32_e32 v9, s18, v7
	v_cmp_le_u32_e32 vcc_lo, s18, v7
	s_delay_alu instid0(VALU_DEP_2) | instskip(NEXT) | instid1(VALU_DEP_1)
	v_dual_cndmask_b32 v7, v7, v9 :: v_dual_cndmask_b32 v0, v0, v8
	v_cmp_le_u32_e32 vcc_lo, s18, v7
	s_delay_alu instid0(VALU_DEP_2) | instskip(NEXT) | instid1(VALU_DEP_1)
	v_add_nc_u32_e32 v8, 1, v0
	v_cndmask_b32_e32 v10, v0, v8, vcc_lo
	s_or_b32 exec_lo, exec_lo, s2
	v_mov_b32_e32 v7, v1
	s_and_saveexec_b32 s29, s1
	s_cbranch_execz .LBB18_9
.LBB18_15:                              ;   in Loop: Header=BB18_10 Depth=2
	s_delay_alu instid0(VALU_DEP_1)
	v_lshl_add_u64 v[8:9], v[6:7], 1, v[2:3]
	v_mul_lo_u32 v19, v6, s5
	s_mov_b32 s30, 0
	s_mov_b32 s31, 0
	global_load_u16 v11, v[8:9], off
	s_wait_xcnt 0x0
	v_mul_u64_e32 v[8:9], s[22:23], v[6:7]
	v_sub_nc_u32_e32 v0, 0, v19
	s_delay_alu instid0(VALU_DEP_2) | instskip(NEXT) | instid1(VALU_DEP_1)
	v_mul_lo_u32 v7, v9, s34
	v_dual_sub_nc_u32 v7, v6, v7 :: v_dual_max_i32 v0, v19, v0
	s_delay_alu instid0(VALU_DEP_1) | instskip(SKIP_1) | instid1(VALU_DEP_3)
	v_mul_u64_e32 v[12:13], s[22:23], v[0:1]
	v_add_nc_u32_e32 v12, 1, v9
	v_cmp_le_u32_e32 vcc_lo, s34, v7
	s_delay_alu instid0(VALU_DEP_2) | instskip(SKIP_2) | instid1(VALU_DEP_1)
	v_cndmask_b32_e32 v9, v9, v12, vcc_lo
	v_subrev_nc_u32_e32 v12, s34, v7
	v_mul_lo_u32 v8, v13, s34
	v_dual_sub_nc_u32 v0, v0, v8 :: v_dual_add_nc_u32 v8, 1, v13
	s_delay_alu instid0(VALU_DEP_1) | instskip(SKIP_1) | instid1(VALU_DEP_2)
	v_cmp_le_u32_e64 s2, s34, v0
	v_subrev_nc_u32_e32 v20, s34, v0
	v_dual_cndmask_b32 v8, v13, v8, s2 :: v_dual_ashrrev_i32 v13, 31, v19
	v_dual_cndmask_b32 v7, v7, v12 :: v_dual_add_nc_u32 v12, 1, v9
	s_delay_alu instid0(VALU_DEP_2) | instskip(NEXT) | instid1(VALU_DEP_2)
	v_xor_b32_e32 v13, s19, v13
	v_cmp_le_u32_e32 vcc_lo, s34, v7
	s_delay_alu instid0(VALU_DEP_4) | instskip(NEXT) | instid1(VALU_DEP_4)
	v_add_nc_u32_e32 v19, 1, v8
	v_cndmask_b32_e32 v7, v9, v12, vcc_lo
	s_delay_alu instid0(VALU_DEP_1) | instskip(NEXT) | instid1(VALU_DEP_1)
	v_dual_cndmask_b32 v0, v0, v20, s2 :: v_dual_bitop2_b32 v7, s19, v7 bitop3:0x14
	v_cmp_le_u32_e32 vcc_lo, s34, v0
	s_delay_alu instid0(VALU_DEP_2) | instskip(SKIP_1) | instid1(VALU_DEP_1)
	v_subrev_nc_u32_e32 v7, s19, v7
	v_cndmask_b32_e32 v0, v8, v19, vcc_lo
	v_xor_b32_e32 v0, v0, v13
	s_delay_alu instid0(VALU_DEP_1) | instskip(NEXT) | instid1(VALU_DEP_1)
	v_sub_nc_u32_e32 v0, v0, v13
	v_mad_u32 v8, v7, s5, v0
	s_delay_alu instid0(VALU_DEP_1) | instskip(NEXT) | instid1(VALU_DEP_1)
	v_sub_nc_u32_e32 v7, v10, v8
	v_add_nc_u32_e32 v0, 1, v7
	s_delay_alu instid0(VALU_DEP_1) | instskip(NEXT) | instid1(VALU_DEP_1)
	v_cvt_f32_i32_e32 v0, v0
	v_bfe_u32 v9, v0, 16, 1
	s_delay_alu instid0(VALU_DEP_1) | instskip(NEXT) | instid1(VALU_DEP_1)
	v_add3_u32 v0, v0, v9, 0x7fff
	v_and_b32_e32 v0, 0xffff0000, v0
	s_wait_loadcnt 0x0
	v_lshlrev_b32_e32 v9, 16, v11
	s_delay_alu instid0(VALU_DEP_1) | instskip(NEXT) | instid1(VALU_DEP_1)
	v_div_scale_f32 v10, null, v0, v0, v9
	v_rcp_f32_e32 v11, v10
	v_nop
	s_delay_alu instid0(TRANS32_DEP_1) | instskip(NEXT) | instid1(VALU_DEP_1)
	v_fma_f32 v12, -v10, v11, 1.0
	v_fmac_f32_e32 v11, v12, v11
	v_div_scale_f32 v13, vcc_lo, v9, v0, v9
	s_delay_alu instid0(VALU_DEP_1) | instskip(NEXT) | instid1(VALU_DEP_1)
	v_mul_f32_e32 v12, v13, v11
	v_fma_f32 v19, -v10, v12, v13
	s_delay_alu instid0(VALU_DEP_1) | instskip(NEXT) | instid1(VALU_DEP_1)
	v_fmac_f32_e32 v12, v19, v11
	v_fma_f32 v10, -v10, v12, v13
	s_delay_alu instid0(VALU_DEP_1) | instskip(NEXT) | instid1(VALU_DEP_1)
	v_div_fmas_f32 v10, v10, v11, v12
	v_div_fixup_f32 v0, v10, v0, v9
	s_delay_alu instid0(VALU_DEP_1) | instskip(SKIP_1) | instid1(VALU_DEP_2)
	v_bfe_u32 v9, v0, 16, 1
	v_cmp_o_f32_e32 vcc_lo, v0, v0
	v_add3_u32 v9, v0, v9, 0x7fff
	s_delay_alu instid0(VALU_DEP_1) | instskip(NEXT) | instid1(VALU_DEP_1)
	v_and_b32_e32 v9, 0xffff0000, v9
	v_cndmask_b32_e32 v0, 0x7fc00000, v9, vcc_lo
	s_delay_alu instid0(VALU_DEP_1) | instskip(NEXT) | instid1(VALU_DEP_1)
	v_div_scale_f32 v9, null, v18, v18, v0
	v_rcp_f32_e32 v10, v9
	v_nop
	s_delay_alu instid0(TRANS32_DEP_1) | instskip(NEXT) | instid1(VALU_DEP_1)
	v_fma_f32 v11, -v9, v10, 1.0
	v_fmac_f32_e32 v10, v11, v10
	v_div_scale_f32 v11, vcc_lo, v0, v18, v0
	s_delay_alu instid0(VALU_DEP_1) | instskip(NEXT) | instid1(VALU_DEP_1)
	v_mul_f32_e32 v12, v11, v10
	v_fma_f32 v13, -v9, v12, v11
	s_delay_alu instid0(VALU_DEP_1) | instskip(NEXT) | instid1(VALU_DEP_1)
	v_fmac_f32_e32 v12, v13, v10
	v_fma_f32 v9, -v9, v12, v11
	s_delay_alu instid0(VALU_DEP_1) | instskip(SKIP_1) | instid1(VALU_DEP_2)
	v_div_fmas_f32 v9, v9, v10, v12
	v_cmp_gt_u32_e32 vcc_lo, 0x7fffffff, v7
	v_div_fixup_f32 v0, v9, v18, v0
	s_delay_alu instid0(VALU_DEP_1) | instskip(SKIP_1) | instid1(VALU_DEP_2)
	v_bfe_u32 v9, v0, 16, 1
	v_cmp_o_f32_e64 s2, v0, v0
	v_add3_u32 v10, v0, v9, 0x7fff
	v_ashrrev_i32_e32 v9, 31, v8
	s_delay_alu instid0(VALU_DEP_2) | instskip(NEXT) | instid1(VALU_DEP_2)
	v_and_b32_e32 v10, 0xffff0000, v10
	v_lshl_add_u64 v[8:9], v[8:9], 1, v[4:5]
	s_delay_alu instid0(VALU_DEP_2)
	v_cndmask_b32_e64 v19, 0x7fc00000, v10, s2
	s_branch .LBB18_17
.LBB18_16:                              ;   in Loop: Header=BB18_17 Depth=3
	s_or_b32 exec_lo, exec_lo, s39
	v_cmp_eq_u32_e64 s2, s31, v17
	v_lshl_add_u64 v[8:9], s[16:17], 1, v[8:9]
	s_add_co_i32 s31, s31, 1
	s_or_b32 s30, s2, s30
	s_delay_alu instid0(SALU_CYCLE_1)
	s_and_not1_b32 exec_lo, exec_lo, s30
	s_cbranch_execz .LBB18_9
.LBB18_17:                              ;   Parent Loop BB18_3 Depth=1
                                        ;     Parent Loop BB18_10 Depth=2
                                        ; =>    This Loop Header: Depth=3
                                        ;         Child Loop BB18_19 Depth 4
                                        ;           Child Loop BB18_20 Depth 5
	s_and_saveexec_b32 s39, vcc_lo
	s_cbranch_execz .LBB18_16
; %bb.18:                               ;   in Loop: Header=BB18_17 Depth=3
	s_mov_b32 s40, 0
	s_delay_alu instid0(SALU_CYCLE_1)
	s_mov_b32 s12, s40
.LBB18_19:                              ;   Parent Loop BB18_3 Depth=1
                                        ;     Parent Loop BB18_10 Depth=2
                                        ;       Parent Loop BB18_17 Depth=3
                                        ; =>      This Loop Header: Depth=4
                                        ;           Child Loop BB18_20 Depth 5
	s_delay_alu instid0(SALU_CYCLE_1) | instskip(SKIP_1) | instid1(VALU_DEP_1)
	v_lshl_add_u64 v[10:11], s[12:13], 1, v[8:9]
	s_mov_b32 s41, 0
	v_and_b32_e32 v0, 2, v10
	s_delay_alu instid0(VALU_DEP_1) | instskip(SKIP_1) | instid1(VALU_DEP_2)
	v_sub_nc_u64_e32 v[12:13], 0, v[0:1]
	v_cmp_eq_u64_e64 s2, 0, v[0:1]
	v_add_nc_u64_e32 v[10:11], v[10:11], v[12:13]
	global_load_b32 v13, v[10:11], off
.LBB18_20:                              ;   Parent Loop BB18_3 Depth=1
                                        ;     Parent Loop BB18_10 Depth=2
                                        ;       Parent Loop BB18_17 Depth=3
                                        ;         Parent Loop BB18_19 Depth=4
                                        ; =>        This Inner Loop Header: Depth=5
	s_wait_loadcnt 0x0
	v_lshrrev_b32_e32 v0, 16, v13
	v_and_b32_e32 v12, 0xffff, v13
	s_delay_alu instid0(VALU_DEP_1) | instskip(NEXT) | instid1(VALU_DEP_1)
	v_cndmask_b32_e64 v0, v0, v12, s2
	v_lshlrev_b32_e32 v0, 16, v0
	s_delay_alu instid0(VALU_DEP_1) | instskip(NEXT) | instid1(VALU_DEP_1)
	v_add_f32_e32 v0, v19, v0
	v_bfe_u32 v20, v0, 16, 1
	v_cmp_o_f32_e64 s3, v0, v0
	s_delay_alu instid0(VALU_DEP_2) | instskip(NEXT) | instid1(VALU_DEP_1)
	v_add3_u32 v20, v0, v20, 0x7fff
	v_lshrrev_b32_e32 v20, 16, v20
	s_delay_alu instid0(VALU_DEP_1) | instskip(NEXT) | instid1(VALU_DEP_1)
	v_cndmask_b32_e64 v0, 0x7fc0, v20, s3
	v_lshl_or_b32 v12, v0, 16, v12
	v_and_or_b32 v0, 0xffff0000, v13, v0
	s_delay_alu instid0(VALU_DEP_1)
	v_cndmask_b32_e64 v12, v12, v0, s2
	global_atomic_cmpswap_b32 v0, v[10:11], v[12:13], off th:TH_ATOMIC_RETURN scope:SCOPE_DEV
	s_wait_loadcnt 0x0
	v_cmp_eq_u32_e64 s3, v13, v0
	v_mov_b32_e32 v13, v0
	s_or_b32 s41, s3, s41
	s_delay_alu instid0(SALU_CYCLE_1)
	s_and_not1_b32 exec_lo, exec_lo, s41
	s_cbranch_execnz .LBB18_20
; %bb.21:                               ;   in Loop: Header=BB18_19 Depth=4
	s_or_b32 exec_lo, exec_lo, s41
	v_cmp_eq_u32_e64 s2, s12, v7
	s_add_co_i32 s12, s12, 1
	s_or_b32 s40, s2, s40
	s_delay_alu instid0(SALU_CYCLE_1)
	s_and_not1_b32 exec_lo, exec_lo, s40
	s_cbranch_execnz .LBB18_19
	s_branch .LBB18_16
.LBB18_22:
	s_endpgm
	.section	.rodata,"a",@progbits
	.p2align	6, 0x0
	.amdhsa_kernel _ZN2at6native12_GLOBAL__N_133atomic_adaptive_average_gradinputIN3c108BFloat16EEEvPT_PKS5_iiii
		.amdhsa_group_segment_fixed_size 0
		.amdhsa_private_segment_fixed_size 0
		.amdhsa_kernarg_size 288
		.amdhsa_user_sgpr_count 2
		.amdhsa_user_sgpr_dispatch_ptr 0
		.amdhsa_user_sgpr_queue_ptr 0
		.amdhsa_user_sgpr_kernarg_segment_ptr 1
		.amdhsa_user_sgpr_dispatch_id 0
		.amdhsa_user_sgpr_kernarg_preload_length 0
		.amdhsa_user_sgpr_kernarg_preload_offset 0
		.amdhsa_user_sgpr_private_segment_size 0
		.amdhsa_wavefront_size32 1
		.amdhsa_uses_dynamic_stack 0
		.amdhsa_enable_private_segment 0
		.amdhsa_system_sgpr_workgroup_id_x 1
		.amdhsa_system_sgpr_workgroup_id_y 1
		.amdhsa_system_sgpr_workgroup_id_z 0
		.amdhsa_system_sgpr_workgroup_info 0
		.amdhsa_system_vgpr_workitem_id 1
		.amdhsa_next_free_vgpr 26
		.amdhsa_next_free_sgpr 48
		.amdhsa_named_barrier_count 0
		.amdhsa_reserve_vcc 1
		.amdhsa_float_round_mode_32 0
		.amdhsa_float_round_mode_16_64 0
		.amdhsa_float_denorm_mode_32 3
		.amdhsa_float_denorm_mode_16_64 3
		.amdhsa_fp16_overflow 0
		.amdhsa_memory_ordered 1
		.amdhsa_forward_progress 1
		.amdhsa_inst_pref_size 26
		.amdhsa_round_robin_scheduling 0
		.amdhsa_exception_fp_ieee_invalid_op 0
		.amdhsa_exception_fp_denorm_src 0
		.amdhsa_exception_fp_ieee_div_zero 0
		.amdhsa_exception_fp_ieee_overflow 0
		.amdhsa_exception_fp_ieee_underflow 0
		.amdhsa_exception_fp_ieee_inexact 0
		.amdhsa_exception_int_div_zero 0
	.end_amdhsa_kernel
	.section	.text._ZN2at6native12_GLOBAL__N_133atomic_adaptive_average_gradinputIN3c108BFloat16EEEvPT_PKS5_iiii,"axG",@progbits,_ZN2at6native12_GLOBAL__N_133atomic_adaptive_average_gradinputIN3c108BFloat16EEEvPT_PKS5_iiii,comdat
.Lfunc_end18:
	.size	_ZN2at6native12_GLOBAL__N_133atomic_adaptive_average_gradinputIN3c108BFloat16EEEvPT_PKS5_iiii, .Lfunc_end18-_ZN2at6native12_GLOBAL__N_133atomic_adaptive_average_gradinputIN3c108BFloat16EEEvPT_PKS5_iiii
                                        ; -- End function
	.set _ZN2at6native12_GLOBAL__N_133atomic_adaptive_average_gradinputIN3c108BFloat16EEEvPT_PKS5_iiii.num_vgpr, 26
	.set _ZN2at6native12_GLOBAL__N_133atomic_adaptive_average_gradinputIN3c108BFloat16EEEvPT_PKS5_iiii.num_agpr, 0
	.set _ZN2at6native12_GLOBAL__N_133atomic_adaptive_average_gradinputIN3c108BFloat16EEEvPT_PKS5_iiii.numbered_sgpr, 48
	.set _ZN2at6native12_GLOBAL__N_133atomic_adaptive_average_gradinputIN3c108BFloat16EEEvPT_PKS5_iiii.num_named_barrier, 0
	.set _ZN2at6native12_GLOBAL__N_133atomic_adaptive_average_gradinputIN3c108BFloat16EEEvPT_PKS5_iiii.private_seg_size, 0
	.set _ZN2at6native12_GLOBAL__N_133atomic_adaptive_average_gradinputIN3c108BFloat16EEEvPT_PKS5_iiii.uses_vcc, 1
	.set _ZN2at6native12_GLOBAL__N_133atomic_adaptive_average_gradinputIN3c108BFloat16EEEvPT_PKS5_iiii.uses_flat_scratch, 0
	.set _ZN2at6native12_GLOBAL__N_133atomic_adaptive_average_gradinputIN3c108BFloat16EEEvPT_PKS5_iiii.has_dyn_sized_stack, 0
	.set _ZN2at6native12_GLOBAL__N_133atomic_adaptive_average_gradinputIN3c108BFloat16EEEvPT_PKS5_iiii.has_recursion, 0
	.set _ZN2at6native12_GLOBAL__N_133atomic_adaptive_average_gradinputIN3c108BFloat16EEEvPT_PKS5_iiii.has_indirect_call, 0
	.section	.AMDGPU.csdata,"",@progbits
; Kernel info:
; codeLenInByte = 3320
; TotalNumSgprs: 50
; NumVgprs: 26
; ScratchSize: 0
; MemoryBound: 0
; FloatMode: 240
; IeeeMode: 1
; LDSByteSize: 0 bytes/workgroup (compile time only)
; SGPRBlocks: 0
; VGPRBlocks: 1
; NumSGPRsForWavesPerEU: 50
; NumVGPRsForWavesPerEU: 26
; NamedBarCnt: 0
; Occupancy: 16
; WaveLimiterHint : 0
; COMPUTE_PGM_RSRC2:SCRATCH_EN: 0
; COMPUTE_PGM_RSRC2:USER_SGPR: 2
; COMPUTE_PGM_RSRC2:TRAP_HANDLER: 0
; COMPUTE_PGM_RSRC2:TGID_X_EN: 1
; COMPUTE_PGM_RSRC2:TGID_Y_EN: 1
; COMPUTE_PGM_RSRC2:TGID_Z_EN: 0
; COMPUTE_PGM_RSRC2:TIDIG_COMP_CNT: 1
	.section	.text._ZN2at6native12_GLOBAL__N_126adaptive_average_gradinputIN3c108BFloat16EEEvPT_PKS5_iiii,"axG",@progbits,_ZN2at6native12_GLOBAL__N_126adaptive_average_gradinputIN3c108BFloat16EEEvPT_PKS5_iiii,comdat
	.globl	_ZN2at6native12_GLOBAL__N_126adaptive_average_gradinputIN3c108BFloat16EEEvPT_PKS5_iiii ; -- Begin function _ZN2at6native12_GLOBAL__N_126adaptive_average_gradinputIN3c108BFloat16EEEvPT_PKS5_iiii
	.p2align	8
	.type	_ZN2at6native12_GLOBAL__N_126adaptive_average_gradinputIN3c108BFloat16EEEvPT_PKS5_iiii,@function
_ZN2at6native12_GLOBAL__N_126adaptive_average_gradinputIN3c108BFloat16EEEvPT_PKS5_iiii: ; @_ZN2at6native12_GLOBAL__N_126adaptive_average_gradinputIN3c108BFloat16EEEvPT_PKS5_iiii
; %bb.0:
	s_clause 0x1
	s_load_b32 s8, s[0:1], 0x2c
	s_load_b128 s[4:7], s[0:1], 0x10
	s_bfe_u32 s2, ttmp6, 0x40010
	s_bfe_u32 s3, ttmp6, 0x40004
	s_add_co_i32 s2, s2, 1
	s_getreg_b32 s10, hwreg(HW_REG_IB_STS2, 6, 4)
	s_mul_i32 s2, ttmp7, s2
	v_bfe_u32 v1, v0, 10, 10
	s_add_co_i32 s3, s3, s2
	s_mov_b32 s9, 0
	s_wait_kmcnt 0x0
	s_lshr_b32 s14, s8, 16
	s_cmp_eq_u32 s10, 0
	s_cselect_b32 s2, ttmp7, s3
	s_delay_alu instid0(SALU_CYCLE_1) | instskip(SKIP_1) | instid1(VALU_DEP_1)
	v_mad_u32 v12, s2, s14, v1
	s_mov_b32 s2, exec_lo
	v_cmpx_gt_i32_e64 s4, v12
	s_cbranch_execz .LBB19_28
; %bb.1:
	s_add_nc_u64 s[12:13], s[0:1], 32
	s_load_b128 s[0:3], s[0:1], 0x0
	s_bfe_u32 s11, ttmp6, 0x4000c
	s_load_b32 s40, s[12:13], 0x4
	s_add_co_i32 s11, s11, 1
	s_wait_xcnt 0x0
	s_and_b32 s12, ttmp6, 15
	s_mul_i32 s11, ttmp9, s11
	v_and_b32_e32 v13, 0x3ff, v0
	s_add_co_i32 s12, s12, s11
	s_cmp_eq_u32 s10, 0
	s_mov_b32 s16, s4
	s_cselect_b32 s10, ttmp9, s12
	s_abs_i32 s33, s4
	s_mul_i32 s12, s4, s10
	s_cvt_f32_u32 s15, s33
	s_mul_i32 s12, s12, s5
	s_abs_i32 s41, s5
	s_ashr_i32 s13, s12, 31
	s_mul_i32 s11, s6, s10
	s_lshl_b64 s[12:13], s[12:13], 1
	v_rcp_iflag_f32_e32 v0, s15
	s_wait_kmcnt 0x0
	s_add_nc_u64 s[12:13], s[0:1], s[12:13]
	s_cvt_f32_u32 s0, s41
	s_mul_i32 s10, s11, s7
	s_abs_i32 s43, s6
	s_ashr_i32 s11, s10, 31
	v_rcp_iflag_f32_e32 v1, s0
	s_lshl_b64 s[10:11], s[10:11], 1
	v_readfirstlane_b32 s1, v0
	s_add_nc_u64 s[10:11], s[2:3], s[10:11]
	s_cvt_f32_u32 s3, s43
	s_abs_i32 s44, s7
	s_and_b32 s42, s8, 0xffff
	v_readfirstlane_b32 s2, v1
	s_mul_f32 s1, s1, 0x4f7ffffe
	v_rcp_iflag_f32_e32 v0, s3
	s_cvt_f32_u32 s8, s44
	s_sub_co_i32 s3, 0, s33
	s_cvt_u32_f32 s1, s1
	s_mul_f32 s2, s2, 0x4f7ffffe
	v_rcp_iflag_f32_e32 v1, s8
	s_sub_co_i32 s22, 0, s41
	v_nop
	v_readfirstlane_b32 s8, v0
	s_mul_i32 s3, s3, s1
	s_cvt_u32_f32 s2, s2
	v_cvt_f32_u32_e32 v0, s16
	s_mul_hi_u32 s3, s1, s3
	v_cmp_gt_i32_e64 s0, s5, v13
	s_mul_i32 s23, s22, s2
	s_add_co_i32 s22, s1, s3
	s_mul_f32 s3, s8, 0x4f7ffffe
	v_readfirstlane_b32 s8, v1
	v_rcp_iflag_f32_e32 v0, v0
	s_mul_hi_u32 s1, s2, s23
	s_ashr_i32 s17, s4, 31
	s_add_co_i32 s24, s2, s1
	s_cvt_u32_f32 s1, s3
	s_mul_f32 s3, s8, 0x4f7ffffe
	s_sub_co_i32 s2, 0, s43
	v_nop
	v_dual_mul_f32 v1, 0x4f7ffffe, v0 :: v_dual_mov_b32 v0, 0
	s_cvt_u32_f32 s3, s3
	s_mul_i32 s2, s2, s1
	s_sub_co_i32 s8, 0, s44
	s_mul_hi_u32 s2, s1, s2
	s_mul_i32 s8, s8, s3
	v_cvt_u32_f32_e32 v14, v1
	s_add_co_i32 s26, s1, s2
	s_mul_hi_u32 s1, s3, s8
	s_mul_i32 s40, s40, s14
	s_ashr_i32 s15, s6, 31
	s_mov_b32 s14, s6
	s_ashr_i32 s19, s7, 31
	s_mov_b32 s18, s7
	;; [unrolled: 2-line block ×3, first 2 shown]
	s_mov_b32 s23, s9
	s_mov_b32 s25, s9
	;; [unrolled: 1-line block ×3, first 2 shown]
	s_add_co_i32 s28, s3, s1
	s_mov_b32 s29, s9
	s_mov_b64 s[30:31], 0xffffffff
	s_sub_co_i32 s45, 0, s7
	s_ashr_i32 s34, s17, 31
	s_mov_b32 s46, 0
	s_branch .LBB19_3
.LBB19_2:                               ;   in Loop: Header=BB19_3 Depth=1
	s_or_b32 exec_lo, exec_lo, s35
	v_add_nc_u32_e32 v12, s40, v12
	s_delay_alu instid0(VALU_DEP_1) | instskip(SKIP_1) | instid1(SALU_CYCLE_1)
	v_cmp_le_i32_e32 vcc_lo, s4, v12
	s_or_b32 s46, vcc_lo, s46
	s_and_not1_b32 exec_lo, exec_lo, s46
	s_cbranch_execz .LBB19_28
.LBB19_3:                               ; =>This Loop Header: Depth=1
                                        ;     Child Loop BB19_10 Depth 2
                                        ;       Child Loop BB19_17 Depth 3
                                        ;         Child Loop BB19_24 Depth 4
	v_add_nc_u32_e32 v1, 1, v12
                                        ; implicit-def: $vgpr4_vgpr5
	s_mov_b32 s1, exec_lo
	s_delay_alu instid0(VALU_DEP_1) | instskip(NEXT) | instid1(VALU_DEP_1)
	v_mad_nc_i64_i32 v[2:3], v1, s14, -1
	v_or_b32_e32 v1, s17, v3
	s_delay_alu instid0(VALU_DEP_1)
	v_cmpx_ne_u64_e32 0, v[0:1]
	s_xor_b32 s36, exec_lo, s1
	s_cbranch_execnz .LBB19_6
; %bb.4:                                ;   in Loop: Header=BB19_3 Depth=1
	s_and_not1_saveexec_b32 s1, s36
	s_cbranch_execnz .LBB19_7
.LBB19_5:                               ;   in Loop: Header=BB19_3 Depth=1
	s_or_b32 exec_lo, exec_lo, s1
	s_and_saveexec_b32 s35, s0
	s_cbranch_execz .LBB19_2
	s_branch .LBB19_8
.LBB19_6:                               ;   in Loop: Header=BB19_3 Depth=1
	s_mov_b32 s35, s34
	v_dual_mov_b32 v7, v0 :: v_dual_ashrrev_i32 v4, 31, v3
	s_add_nc_u64 s[2:3], s[16:17], s[34:35]
	s_delay_alu instid0(SALU_CYCLE_1) | instskip(NEXT) | instid1(VALU_DEP_1)
	s_xor_b64 s[2:3], s[2:3], s[34:35]
	v_mov_b32_e32 v5, v4
	s_cvt_f32_u32 s1, s2
	s_cvt_f32_u32 s8, s3
	s_sub_nc_u64 s[48:49], 0, s[2:3]
	s_delay_alu instid0(VALU_DEP_1) | instskip(NEXT) | instid1(SALU_CYCLE_1)
	v_add_nc_u64_e32 v[2:3], v[2:3], v[4:5]
	s_fmamk_f32 s1, s8, 0x4f800000, s1
	v_mov_b32_e32 v11, v0
	s_delay_alu instid0(SALU_CYCLE_2) | instskip(NEXT) | instid1(VALU_DEP_2)
	v_s_rcp_f32 s1, s1
	v_xor_b32_e32 v6, v2, v4
	s_delay_alu instid0(VALU_DEP_3) | instskip(NEXT) | instid1(TRANS32_DEP_1)
	v_dual_mov_b32 v19, v0 :: v_dual_bitop2_b32 v10, v3, v4 bitop3:0x14
	s_mul_f32 s1, s1, 0x5f7ffffc
	s_delay_alu instid0(SALU_CYCLE_3) | instskip(NEXT) | instid1(SALU_CYCLE_3)
	s_mul_f32 s8, s1, 0x2f800000
	s_trunc_f32 s8, s8
	s_delay_alu instid0(SALU_CYCLE_3) | instskip(SKIP_1) | instid1(SALU_CYCLE_2)
	s_fmamk_f32 s1, s8, 0xcf800000, s1
	s_cvt_u32_f32 s39, s8
	s_cvt_u32_f32 s38, s1
	s_delay_alu instid0(SALU_CYCLE_3) | instskip(NEXT) | instid1(SALU_CYCLE_1)
	s_mul_u64 s[50:51], s[48:49], s[38:39]
	s_mul_hi_u32 s53, s38, s51
	s_mul_i32 s52, s38, s51
	s_mul_hi_u32 s8, s38, s50
	s_mul_i32 s35, s39, s50
	s_add_nc_u64 s[52:53], s[8:9], s[52:53]
	s_mul_hi_u32 s1, s39, s50
	s_mul_hi_u32 s37, s39, s51
	s_add_co_u32 s8, s52, s35
	s_add_co_ci_u32 s8, s53, s1
	s_mul_i32 s50, s39, s51
	s_add_co_ci_u32 s51, s37, 0
	s_delay_alu instid0(SALU_CYCLE_1) | instskip(NEXT) | instid1(SALU_CYCLE_1)
	s_add_nc_u64 s[50:51], s[8:9], s[50:51]
	s_add_co_u32 s38, s38, s50
	s_cselect_b32 s1, -1, 0
	s_delay_alu instid0(SALU_CYCLE_1) | instskip(SKIP_1) | instid1(SALU_CYCLE_1)
	s_cmp_lg_u32 s1, 0
	s_add_co_ci_u32 s39, s39, s51
	s_mul_u64 s[48:49], s[48:49], s[38:39]
	s_delay_alu instid0(SALU_CYCLE_1)
	s_mul_hi_u32 s51, s38, s49
	s_mul_i32 s50, s38, s49
	s_mul_hi_u32 s8, s38, s48
	s_mul_i32 s35, s39, s48
	s_add_nc_u64 s[50:51], s[8:9], s[50:51]
	s_mul_hi_u32 s1, s39, s48
	s_mul_hi_u32 s37, s39, s49
	s_add_co_u32 s8, s50, s35
	s_add_co_ci_u32 s8, s51, s1
	s_mul_i32 s48, s39, s49
	s_add_co_ci_u32 s49, s37, 0
	s_delay_alu instid0(SALU_CYCLE_1) | instskip(NEXT) | instid1(SALU_CYCLE_1)
	s_add_nc_u64 s[48:49], s[8:9], s[48:49]
	s_add_co_u32 s38, s38, s48
	s_cselect_b32 s1, -1, 0
	v_mul_hi_u32 v18, v6, s38
	s_cmp_lg_u32 s1, 0
	s_add_co_ci_u32 s8, s39, s49
	s_and_b64 s[48:49], s[38:39], s[30:31]
	v_mul_u64_e32 v[8:9], s[8:9], v[6:7]
	v_mul_u64_e32 v[2:3], s[48:49], v[10:11]
	v_mul_u64_e32 v[16:17], s[8:9], v[10:11]
	s_delay_alu instid0(VALU_DEP_3) | instskip(NEXT) | instid1(VALU_DEP_1)
	v_add_nc_u64_e32 v[8:9], v[18:19], v[8:9]
	v_add_co_u32 v1, vcc_lo, v8, v2
	s_delay_alu instid0(VALU_DEP_2) | instskip(NEXT) | instid1(VALU_DEP_4)
	v_add_co_ci_u32_e32 v18, vcc_lo, v9, v3, vcc_lo
	v_add_co_ci_u32_e32 v17, vcc_lo, 0, v17, vcc_lo
	s_delay_alu instid0(VALU_DEP_1) | instskip(NEXT) | instid1(VALU_DEP_1)
	v_add_nc_u64_e32 v[2:3], v[18:19], v[16:17]
	v_mul_u64_e32 v[8:9], s[2:3], v[2:3]
	s_delay_alu instid0(VALU_DEP_1) | instskip(NEXT) | instid1(VALU_DEP_2)
	v_sub_nc_u32_e32 v1, v10, v9
	v_sub_co_u32 v5, vcc_lo, v6, v8
	s_delay_alu instid0(VALU_DEP_1) | instskip(NEXT) | instid1(VALU_DEP_3)
	v_sub_co_ci_u32_e64 v10, null, v10, v9, vcc_lo
	v_subrev_co_ci_u32_e64 v1, null, s3, v1, vcc_lo
	s_delay_alu instid0(VALU_DEP_3) | instskip(SKIP_1) | instid1(VALU_DEP_3)
	v_sub_co_u32 v6, s1, v5, s2
	v_add_nc_u64_e32 v[8:9], 1, v[2:3]
	v_subrev_co_ci_u32_e64 v1, null, 0, v1, s1
	s_delay_alu instid0(VALU_DEP_3) | instskip(SKIP_1) | instid1(VALU_DEP_3)
	v_cmp_le_u32_e32 vcc_lo, s2, v6
	v_cndmask_b32_e64 v6, 0, -1, vcc_lo
	v_cmp_le_u32_e32 vcc_lo, s3, v1
	v_cndmask_b32_e64 v7, 0, -1, vcc_lo
	;; [unrolled: 2-line block ×4, first 2 shown]
	v_cmp_eq_u32_e32 vcc_lo, s3, v1
	v_cndmask_b32_e32 v1, v7, v6, vcc_lo
	v_cmp_eq_u32_e32 vcc_lo, s3, v10
	v_add_nc_u64_e32 v[6:7], 2, v[2:3]
	v_cndmask_b32_e32 v5, v11, v5, vcc_lo
	s_delay_alu instid0(VALU_DEP_4) | instskip(NEXT) | instid1(VALU_DEP_3)
	v_cmp_ne_u32_e32 vcc_lo, 0, v1
	v_cndmask_b32_e32 v1, v9, v7, vcc_lo
	s_delay_alu instid0(VALU_DEP_3) | instskip(SKIP_1) | instid1(VALU_DEP_2)
	v_cmp_ne_u32_e64 s1, 0, v5
	v_dual_cndmask_b32 v5, v8, v6, vcc_lo :: v_dual_bitop2_b32 v4, s34, v4 bitop3:0x14
	v_cndmask_b32_e64 v1, v3, v1, s1
	s_delay_alu instid0(VALU_DEP_2) | instskip(NEXT) | instid1(VALU_DEP_2)
	v_dual_cndmask_b32 v2, v2, v5, s1 :: v_dual_mov_b32 v5, v4
	v_xor_b32_e32 v3, v1, v4
	s_delay_alu instid0(VALU_DEP_2) | instskip(NEXT) | instid1(VALU_DEP_1)
	v_xor_b32_e32 v2, v2, v4
	v_sub_nc_u64_e32 v[4:5], v[2:3], v[4:5]
                                        ; implicit-def: $vgpr2_vgpr3
	s_and_not1_saveexec_b32 s1, s36
	s_cbranch_execz .LBB19_5
.LBB19_7:                               ;   in Loop: Header=BB19_3 Depth=1
	s_sub_co_i32 s2, 0, s16
	s_delay_alu instid0(SALU_CYCLE_1) | instskip(NEXT) | instid1(VALU_DEP_1)
	v_mul_lo_u32 v1, s2, v14
	v_mul_hi_u32 v1, v14, v1
	s_delay_alu instid0(VALU_DEP_1) | instskip(NEXT) | instid1(VALU_DEP_1)
	v_add_nc_u32_e32 v1, v14, v1
	v_mul_hi_u32 v1, v2, v1
	s_delay_alu instid0(VALU_DEP_1) | instskip(NEXT) | instid1(VALU_DEP_1)
	v_mul_lo_u32 v3, v1, s16
	v_dual_sub_nc_u32 v2, v2, v3 :: v_dual_add_nc_u32 v3, 1, v1
	s_delay_alu instid0(VALU_DEP_1) | instskip(SKIP_1) | instid1(VALU_DEP_2)
	v_subrev_nc_u32_e32 v4, s16, v2
	v_cmp_le_u32_e32 vcc_lo, s16, v2
	v_dual_cndmask_b32 v2, v2, v4 :: v_dual_cndmask_b32 v1, v1, v3
	s_delay_alu instid0(VALU_DEP_1) | instskip(NEXT) | instid1(VALU_DEP_2)
	v_cmp_le_u32_e32 vcc_lo, s16, v2
	v_add_nc_u32_e32 v3, 1, v1
	s_delay_alu instid0(VALU_DEP_1)
	v_cndmask_b32_e32 v4, v1, v3, vcc_lo
	s_or_b32 exec_lo, exec_lo, s1
	s_and_saveexec_b32 s35, s0
	s_cbranch_execz .LBB19_2
.LBB19_8:                               ;   in Loop: Header=BB19_3 Depth=1
	v_dual_sub_nc_u32 v1, 0, v12 :: v_dual_mov_b32 v3, v0
	s_mov_b32 s47, 0
	v_ashrrev_i32_e32 v5, 31, v12
	s_delay_alu instid0(VALU_DEP_2) | instskip(NEXT) | instid1(VALU_DEP_2)
	v_dual_add_nc_u32 v16, 1, v4 :: v_dual_max_i32 v2, v12, v1
	v_dual_mov_b32 v4, v13 :: v_dual_bitop2_b32 v5, s17, v5 bitop3:0x14
	s_delay_alu instid0(VALU_DEP_2) | instskip(NEXT) | instid1(VALU_DEP_1)
	v_mul_u64_e32 v[6:7], s[22:23], v[2:3]
	v_mul_lo_u32 v1, v7, s33
	s_delay_alu instid0(VALU_DEP_1) | instskip(NEXT) | instid1(VALU_DEP_1)
	v_dual_sub_nc_u32 v1, v2, v1 :: v_dual_add_nc_u32 v2, 1, v7
	v_subrev_nc_u32_e32 v3, s33, v1
	v_cmp_le_u32_e32 vcc_lo, s33, v1
	s_delay_alu instid0(VALU_DEP_2) | instskip(NEXT) | instid1(VALU_DEP_1)
	v_dual_cndmask_b32 v2, v7, v2 :: v_dual_cndmask_b32 v1, v1, v3
	v_add_nc_u32_e32 v3, 1, v2
	s_delay_alu instid0(VALU_DEP_2) | instskip(NEXT) | instid1(VALU_DEP_2)
	v_cmp_le_u32_e32 vcc_lo, s33, v1
	v_dual_cndmask_b32 v1, v2, v3, vcc_lo :: v_dual_mov_b32 v3, v0
	s_delay_alu instid0(VALU_DEP_1) | instskip(NEXT) | instid1(VALU_DEP_1)
	v_xor_b32_e32 v1, v1, v5
	v_sub_nc_u32_e32 v1, v1, v5
	s_delay_alu instid0(VALU_DEP_1) | instskip(NEXT) | instid1(VALU_DEP_1)
	v_mul_lo_u32 v2, v1, s4
	v_sub_nc_u32_e32 v2, v12, v2
	s_delay_alu instid0(VALU_DEP_1) | instskip(NEXT) | instid1(VALU_DEP_1)
	v_mul_lo_u32 v5, v2, s6
	v_sub_nc_u32_e32 v2, 0, v5
	s_delay_alu instid0(VALU_DEP_1) | instskip(NEXT) | instid1(VALU_DEP_1)
	v_max_i32_e32 v2, v5, v2
	v_mul_u64_e32 v[6:7], s[22:23], v[2:3]
	s_delay_alu instid0(VALU_DEP_1) | instskip(NEXT) | instid1(VALU_DEP_1)
	v_mul_lo_u32 v3, v7, s33
	v_sub_nc_u32_e32 v2, v2, v3
	v_add_nc_u32_e32 v3, 1, v7
	s_delay_alu instid0(VALU_DEP_2) | instskip(NEXT) | instid1(VALU_DEP_2)
	v_cmp_le_u32_e32 vcc_lo, s33, v2
	v_cndmask_b32_e32 v3, v7, v3, vcc_lo
	v_subrev_nc_u32_e32 v6, s33, v2
	s_delay_alu instid0(VALU_DEP_1) | instskip(NEXT) | instid1(VALU_DEP_1)
	v_dual_cndmask_b32 v2, v2, v6 :: v_dual_ashrrev_i32 v5, 31, v5
	v_dual_add_nc_u32 v6, 1, v3 :: v_dual_bitop2_b32 v5, s17, v5 bitop3:0x14
	s_delay_alu instid0(VALU_DEP_2) | instskip(NEXT) | instid1(VALU_DEP_2)
	v_cmp_le_u32_e32 vcc_lo, s33, v2
	v_cndmask_b32_e32 v2, v3, v6, vcc_lo
	s_delay_alu instid0(VALU_DEP_1) | instskip(NEXT) | instid1(VALU_DEP_1)
	v_xor_b32_e32 v2, v2, v5
	v_sub_nc_u32_e32 v3, v2, v5
	v_mul_lo_u32 v2, v12, s5
	s_delay_alu instid0(VALU_DEP_2) | instskip(NEXT) | instid1(VALU_DEP_2)
	v_mad_u32 v15, v1, s6, v3
	v_ashrrev_i32_e32 v3, 31, v2
	s_delay_alu instid0(VALU_DEP_2) | instskip(NEXT) | instid1(VALU_DEP_2)
	v_mul_lo_u32 v17, s7, v15
	v_lshl_add_u64 v[2:3], v[2:3], 1, s[12:13]
	v_cmp_lt_i32_e64 s1, v15, v16
	s_branch .LBB19_10
.LBB19_9:                               ;   in Loop: Header=BB19_10 Depth=2
	s_or_b32 exec_lo, exec_lo, s48
	v_add_nc_u32_e32 v4, s42, v4
	s_delay_alu instid0(VALU_DEP_1) | instskip(SKIP_1) | instid1(SALU_CYCLE_1)
	v_cmp_le_i32_e32 vcc_lo, s5, v4
	s_or_b32 s47, vcc_lo, s47
	s_and_not1_b32 exec_lo, exec_lo, s47
	s_cbranch_execz .LBB19_2
.LBB19_10:                              ;   Parent Loop BB19_3 Depth=1
                                        ; =>  This Loop Header: Depth=2
                                        ;       Child Loop BB19_17 Depth 3
                                        ;         Child Loop BB19_24 Depth 4
	v_add_nc_u32_e32 v1, 1, v4
                                        ; implicit-def: $vgpr8_vgpr9
	s_mov_b32 s2, exec_lo
	s_delay_alu instid0(VALU_DEP_1) | instskip(NEXT) | instid1(VALU_DEP_1)
	v_mad_nc_u64_u32 v[6:7], v1, s18, -1
	v_mad_u32 v7, v1, s19, v7
	s_delay_alu instid0(VALU_DEP_1) | instskip(NEXT) | instid1(VALU_DEP_1)
	v_or_b32_e32 v1, s21, v7
	v_cmpx_ne_u64_e32 0, v[0:1]
	s_xor_b32 s3, exec_lo, s2
	s_cbranch_execnz .LBB19_13
; %bb.11:                               ;   in Loop: Header=BB19_10 Depth=2
	s_and_not1_saveexec_b32 s2, s3
	s_cbranch_execnz .LBB19_14
.LBB19_12:                              ;   in Loop: Header=BB19_10 Depth=2
	s_or_b32 exec_lo, exec_lo, s2
	v_mov_b32_e32 v5, v0
	s_and_saveexec_b32 s48, s1
	s_cbranch_execz .LBB19_9
	s_branch .LBB19_15
.LBB19_13:                              ;   in Loop: Header=BB19_10 Depth=2
	s_ashr_i32 s36, s21, 31
	v_dual_mov_b32 v11, v0 :: v_dual_ashrrev_i32 v8, 31, v7
	s_mov_b32 s37, s36
	v_mov_b32_e32 v25, v0
	s_add_nc_u64 s[38:39], s[20:21], s[36:37]
	s_delay_alu instid0(VALU_DEP_2) | instskip(SKIP_1) | instid1(SALU_CYCLE_1)
	v_mov_b32_e32 v9, v8
	s_xor_b64 s[38:39], s[38:39], s[36:37]
	s_cvt_f32_u32 s2, s38
	s_cvt_f32_u32 s8, s39
	s_sub_nc_u64 s[50:51], 0, s[38:39]
	v_add_nc_u64_e32 v[6:7], v[6:7], v[8:9]
	v_mov_b32_e32 v21, v0
	s_fmamk_f32 s2, s8, 0x4f800000, s2
	s_delay_alu instid0(SALU_CYCLE_3) | instskip(NEXT) | instid1(VALU_DEP_2)
	v_s_rcp_f32 s2, s2
	v_xor_b32_e32 v10, v6, v8
	s_delay_alu instid0(VALU_DEP_3) | instskip(NEXT) | instid1(TRANS32_DEP_1)
	v_xor_b32_e32 v20, v7, v8
	s_mul_f32 s2, s2, 0x5f7ffffc
	s_delay_alu instid0(SALU_CYCLE_3) | instskip(NEXT) | instid1(SALU_CYCLE_3)
	s_mul_f32 s8, s2, 0x2f800000
	s_trunc_f32 s8, s8
	s_delay_alu instid0(SALU_CYCLE_3) | instskip(SKIP_1) | instid1(SALU_CYCLE_2)
	s_fmamk_f32 s2, s8, 0xcf800000, s2
	s_cvt_u32_f32 s49, s8
	s_cvt_u32_f32 s48, s2
	s_delay_alu instid0(SALU_CYCLE_3) | instskip(NEXT) | instid1(SALU_CYCLE_1)
	s_mul_u64 s[52:53], s[50:51], s[48:49]
	s_mul_hi_u32 s55, s48, s53
	s_mul_i32 s54, s48, s53
	s_mul_hi_u32 s8, s48, s52
	s_mul_i32 s37, s49, s52
	s_add_nc_u64 s[54:55], s[8:9], s[54:55]
	s_mul_hi_u32 s2, s49, s52
	s_mul_hi_u32 s56, s49, s53
	s_add_co_u32 s8, s54, s37
	s_add_co_ci_u32 s8, s55, s2
	s_mul_i32 s52, s49, s53
	s_add_co_ci_u32 s53, s56, 0
	s_delay_alu instid0(SALU_CYCLE_1) | instskip(NEXT) | instid1(SALU_CYCLE_1)
	s_add_nc_u64 s[52:53], s[8:9], s[52:53]
	s_add_co_u32 s48, s48, s52
	s_cselect_b32 s2, -1, 0
	s_delay_alu instid0(SALU_CYCLE_1) | instskip(SKIP_1) | instid1(SALU_CYCLE_1)
	s_cmp_lg_u32 s2, 0
	s_add_co_ci_u32 s49, s49, s53
	s_mul_u64 s[50:51], s[50:51], s[48:49]
	s_delay_alu instid0(SALU_CYCLE_1)
	s_mul_hi_u32 s53, s48, s51
	s_mul_i32 s52, s48, s51
	s_mul_hi_u32 s8, s48, s50
	s_mul_i32 s37, s49, s50
	s_add_nc_u64 s[52:53], s[8:9], s[52:53]
	s_mul_hi_u32 s2, s49, s50
	s_mul_hi_u32 s54, s49, s51
	s_add_co_u32 s8, s52, s37
	s_add_co_ci_u32 s8, s53, s2
	s_mul_i32 s50, s49, s51
	s_add_co_ci_u32 s51, s54, 0
	s_delay_alu instid0(SALU_CYCLE_1) | instskip(NEXT) | instid1(SALU_CYCLE_1)
	s_add_nc_u64 s[50:51], s[8:9], s[50:51]
	s_add_co_u32 s2, s48, s50
	s_cselect_b32 s8, -1, 0
	v_mul_hi_u32 v24, v10, s2
	s_cmp_lg_u32 s8, 0
	s_add_co_ci_u32 s8, s49, s51
	s_and_b64 s[48:49], s[2:3], s[30:31]
	v_mul_u64_e32 v[18:19], s[8:9], v[10:11]
	v_mul_u64_e32 v[6:7], s[48:49], v[20:21]
	;; [unrolled: 1-line block ×3, first 2 shown]
	s_delay_alu instid0(VALU_DEP_3) | instskip(NEXT) | instid1(VALU_DEP_1)
	v_add_nc_u64_e32 v[18:19], v[24:25], v[18:19]
	v_add_co_u32 v1, vcc_lo, v18, v6
	s_delay_alu instid0(VALU_DEP_2) | instskip(NEXT) | instid1(VALU_DEP_4)
	v_add_co_ci_u32_e32 v24, vcc_lo, v19, v7, vcc_lo
	v_add_co_ci_u32_e32 v23, vcc_lo, 0, v23, vcc_lo
	s_delay_alu instid0(VALU_DEP_1) | instskip(NEXT) | instid1(VALU_DEP_1)
	v_add_nc_u64_e32 v[6:7], v[24:25], v[22:23]
	v_mul_u64_e32 v[18:19], s[38:39], v[6:7]
	s_delay_alu instid0(VALU_DEP_1) | instskip(NEXT) | instid1(VALU_DEP_2)
	v_sub_nc_u32_e32 v1, v20, v19
	v_sub_co_u32 v5, vcc_lo, v10, v18
	s_delay_alu instid0(VALU_DEP_1) | instskip(NEXT) | instid1(VALU_DEP_3)
	v_sub_co_ci_u32_e64 v20, null, v20, v19, vcc_lo
	v_subrev_co_ci_u32_e64 v1, null, s39, v1, vcc_lo
	s_delay_alu instid0(VALU_DEP_3) | instskip(SKIP_1) | instid1(VALU_DEP_3)
	v_sub_co_u32 v9, s2, v5, s38
	v_add_nc_u64_e32 v[18:19], 1, v[6:7]
	v_subrev_co_ci_u32_e64 v1, null, 0, v1, s2
	s_delay_alu instid0(VALU_DEP_3) | instskip(SKIP_1) | instid1(VALU_DEP_3)
	v_cmp_le_u32_e32 vcc_lo, s38, v9
	v_cndmask_b32_e64 v9, 0, -1, vcc_lo
	v_cmp_le_u32_e32 vcc_lo, s39, v1
	v_cndmask_b32_e64 v10, 0, -1, vcc_lo
	;; [unrolled: 2-line block ×4, first 2 shown]
	v_cmp_eq_u32_e32 vcc_lo, s39, v1
	v_cndmask_b32_e32 v1, v10, v9, vcc_lo
	v_cmp_eq_u32_e32 vcc_lo, s39, v20
	v_add_nc_u64_e32 v[10:11], 2, v[6:7]
	v_cndmask_b32_e32 v5, v21, v5, vcc_lo
	s_delay_alu instid0(VALU_DEP_4) | instskip(NEXT) | instid1(VALU_DEP_2)
	v_cmp_ne_u32_e32 vcc_lo, 0, v1
	v_cmp_ne_u32_e64 s2, 0, v5
	s_delay_alu instid0(VALU_DEP_4) | instskip(NEXT) | instid1(VALU_DEP_1)
	v_dual_cndmask_b32 v1, v19, v11, vcc_lo :: v_dual_cndmask_b32 v5, v18, v10, vcc_lo
	v_dual_cndmask_b32 v1, v7, v1, s2 :: v_dual_bitop2_b32 v8, s36, v8 bitop3:0x14
	s_delay_alu instid0(VALU_DEP_1) | instskip(NEXT) | instid1(VALU_DEP_2)
	v_dual_cndmask_b32 v5, v6, v5, s2 :: v_dual_mov_b32 v9, v8
	v_xor_b32_e32 v7, v1, v8
	s_delay_alu instid0(VALU_DEP_2) | instskip(NEXT) | instid1(VALU_DEP_1)
	v_xor_b32_e32 v6, v5, v8
	v_sub_nc_u64_e32 v[8:9], v[6:7], v[8:9]
                                        ; implicit-def: $vgpr6_vgpr7
	s_and_not1_saveexec_b32 s2, s3
	s_cbranch_execz .LBB19_12
.LBB19_14:                              ;   in Loop: Header=BB19_10 Depth=2
	v_cvt_f32_u32_e32 v1, s20
	s_sub_co_i32 s3, 0, s20
	s_delay_alu instid0(VALU_DEP_1) | instskip(SKIP_1) | instid1(TRANS32_DEP_1)
	v_rcp_iflag_f32_e32 v1, v1
	v_nop
	v_mul_f32_e32 v1, 0x4f7ffffe, v1
	s_delay_alu instid0(VALU_DEP_1) | instskip(NEXT) | instid1(VALU_DEP_1)
	v_cvt_u32_f32_e32 v1, v1
	v_mul_lo_u32 v5, s3, v1
	s_delay_alu instid0(VALU_DEP_1) | instskip(NEXT) | instid1(VALU_DEP_1)
	v_mul_hi_u32 v5, v1, v5
	v_add_nc_u32_e32 v1, v1, v5
	s_delay_alu instid0(VALU_DEP_1) | instskip(NEXT) | instid1(VALU_DEP_1)
	v_mul_hi_u32 v1, v6, v1
	v_mul_lo_u32 v5, v1, s20
	s_delay_alu instid0(VALU_DEP_1) | instskip(NEXT) | instid1(VALU_DEP_1)
	v_sub_nc_u32_e32 v5, v6, v5
	v_subrev_nc_u32_e32 v7, s20, v5
	v_cmp_le_u32_e32 vcc_lo, s20, v5
	s_delay_alu instid0(VALU_DEP_2) | instskip(NEXT) | instid1(VALU_DEP_1)
	v_dual_cndmask_b32 v5, v5, v7 :: v_dual_add_nc_u32 v6, 1, v1
	v_cndmask_b32_e32 v1, v1, v6, vcc_lo
	s_delay_alu instid0(VALU_DEP_2) | instskip(NEXT) | instid1(VALU_DEP_2)
	v_cmp_le_u32_e32 vcc_lo, s20, v5
	v_add_nc_u32_e32 v6, 1, v1
	s_delay_alu instid0(VALU_DEP_1)
	v_cndmask_b32_e32 v8, v1, v6, vcc_lo
	s_or_b32 exec_lo, exec_lo, s2
	v_mov_b32_e32 v5, v0
	s_and_saveexec_b32 s48, s1
	s_cbranch_execz .LBB19_9
.LBB19_15:                              ;   in Loop: Header=BB19_10 Depth=2
	v_mul_lo_u32 v1, v4, s7
	s_delay_alu instid0(VALU_DEP_2) | instskip(SKIP_2) | instid1(VALU_DEP_3)
	v_mul_u64_e32 v[10:11], s[24:25], v[4:5]
	v_mov_b32_e32 v22, v15
	s_mov_b32 s49, 0
	v_dual_mov_b32 v7, v0 :: v_dual_sub_nc_u32 v6, 0, v1
	s_delay_alu instid0(VALU_DEP_1) | instskip(NEXT) | instid1(VALU_DEP_1)
	v_max_i32_e32 v6, v1, v6
	v_mul_u64_e32 v[18:19], s[24:25], v[6:7]
	v_mul_lo_u32 v7, v11, s41
	s_delay_alu instid0(VALU_DEP_1) | instskip(NEXT) | instid1(VALU_DEP_1)
	v_sub_nc_u32_e32 v7, v4, v7
	v_cmp_le_u32_e32 vcc_lo, s41, v7
	s_delay_alu instid0(VALU_DEP_4) | instskip(NEXT) | instid1(VALU_DEP_1)
	v_mul_lo_u32 v9, v19, s41
	v_dual_add_nc_u32 v10, 1, v11 :: v_dual_sub_nc_u32 v6, v6, v9
	s_delay_alu instid0(VALU_DEP_1) | instskip(SKIP_2) | instid1(VALU_DEP_4)
	v_dual_cndmask_b32 v10, v11, v10 :: v_dual_add_nc_u32 v9, 1, v19
	v_subrev_nc_u32_e32 v11, s41, v7
	v_ashrrev_i32_e32 v1, 31, v1
	v_subrev_nc_u32_e32 v18, s41, v6
	v_cmp_le_u32_e64 s2, s41, v6
	s_delay_alu instid0(VALU_DEP_4) | instskip(NEXT) | instid1(VALU_DEP_2)
	v_dual_cndmask_b32 v7, v7, v11, vcc_lo :: v_dual_add_nc_u32 v11, 1, v10
	v_dual_cndmask_b32 v9, v19, v9, s2 :: v_dual_cndmask_b32 v6, v6, v18, s2
	s_delay_alu instid0(VALU_DEP_2) | instskip(SKIP_1) | instid1(VALU_DEP_3)
	v_cmp_le_u32_e32 vcc_lo, s41, v7
	v_dual_add_nc_u32 v19, 1, v8 :: v_dual_bitop2_b32 v1, s21, v1 bitop3:0x14
	v_dual_cndmask_b32 v7, v10, v11 :: v_dual_add_nc_u32 v18, 1, v9
	s_delay_alu instid0(VALU_DEP_4) | instskip(NEXT) | instid1(VALU_DEP_2)
	v_cmp_le_u32_e32 vcc_lo, s41, v6
	v_dual_cndmask_b32 v6, v9, v18, vcc_lo :: v_dual_bitop2_b32 v7, s21, v7 bitop3:0x14
	s_delay_alu instid0(VALU_DEP_1) | instskip(NEXT) | instid1(VALU_DEP_2)
	v_subrev_nc_u32_e32 v7, s21, v7
	v_xor_b32_e32 v6, v6, v1
	s_delay_alu instid0(VALU_DEP_1) | instskip(NEXT) | instid1(VALU_DEP_1)
	v_sub_nc_u32_e32 v1, v6, v1
	v_mad_u32 v18, v7, s7, v1
	v_lshl_add_u64 v[6:7], v[4:5], 1, v[2:3]
	v_mov_b32_e32 v5, v17
	s_delay_alu instid0(VALU_DEP_3)
	v_cmp_lt_i32_e64 s2, v18, v19
	s_branch .LBB19_17
.LBB19_16:                              ;   in Loop: Header=BB19_17 Depth=3
	s_or_b32 exec_lo, exec_lo, s50
	s_delay_alu instid0(VALU_DEP_1) | instskip(SKIP_2) | instid1(SALU_CYCLE_1)
	v_cmp_ge_i32_e32 vcc_lo, v20, v16
	v_dual_mov_b32 v22, v20 :: v_dual_add_nc_u32 v5, s7, v5
	s_or_b32 s49, vcc_lo, s49
	s_and_not1_b32 exec_lo, exec_lo, s49
	s_cbranch_execz .LBB19_9
.LBB19_17:                              ;   Parent Loop BB19_3 Depth=1
                                        ;     Parent Loop BB19_10 Depth=2
                                        ; =>    This Loop Header: Depth=3
                                        ;         Child Loop BB19_24 Depth 4
	s_delay_alu instid0(VALU_DEP_1) | instskip(NEXT) | instid1(VALU_DEP_2)
	v_add_nc_u32_e32 v20, 1, v22
	s_and_saveexec_b32 s50, s2
	s_cbranch_execz .LBB19_16
; %bb.18:                               ;   in Loop: Header=BB19_17 Depth=3
	s_delay_alu instid0(VALU_DEP_1) | instskip(SKIP_1) | instid1(VALU_DEP_1)
	v_mad_nc_i64_i32 v[8:9], v20, s16, -1
                                        ; implicit-def: $vgpr10_vgpr11
	s_mov_b32 s3, exec_lo
	v_or_b32_e32 v1, s15, v9
	s_delay_alu instid0(VALU_DEP_1)
	v_cmpx_ne_u64_e32 0, v[0:1]
	s_xor_b32 s51, exec_lo, s3
	s_cbranch_execz .LBB19_20
; %bb.19:                               ;   in Loop: Header=BB19_17 Depth=3
	s_ashr_i32 s36, s15, 31
	v_dual_mov_b32 v25, v0 :: v_dual_ashrrev_i32 v10, 31, v9
	s_mov_b32 s37, s36
	v_mov_b32_e32 v33, v0
	s_add_nc_u64 s[38:39], s[14:15], s[36:37]
	s_delay_alu instid0(VALU_DEP_2) | instskip(SKIP_1) | instid1(SALU_CYCLE_1)
	v_mov_b32_e32 v11, v10
	s_xor_b64 s[38:39], s[38:39], s[36:37]
	s_cvt_f32_u32 s3, s38
	s_cvt_f32_u32 s8, s39
	s_sub_nc_u64 s[54:55], 0, s[38:39]
	v_add_nc_u64_e32 v[8:9], v[8:9], v[10:11]
	v_mov_b32_e32 v29, v0
	s_fmamk_f32 s3, s8, 0x4f800000, s3
	s_delay_alu instid0(SALU_CYCLE_3) | instskip(NEXT) | instid1(VALU_DEP_2)
	v_s_rcp_f32 s3, s3
	v_xor_b32_e32 v24, v8, v10
	s_delay_alu instid0(VALU_DEP_3) | instskip(SKIP_1) | instid1(TRANS32_DEP_1)
	v_xor_b32_e32 v28, v9, v10
	v_xor_b32_e32 v10, s36, v10
	s_mul_f32 s3, s3, 0x5f7ffffc
	s_delay_alu instid0(SALU_CYCLE_3) | instskip(NEXT) | instid1(SALU_CYCLE_3)
	s_mul_f32 s8, s3, 0x2f800000
	s_trunc_f32 s8, s8
	s_delay_alu instid0(SALU_CYCLE_3) | instskip(SKIP_1) | instid1(SALU_CYCLE_2)
	s_fmamk_f32 s3, s8, 0xcf800000, s3
	s_cvt_u32_f32 s53, s8
	s_cvt_u32_f32 s52, s3
	s_delay_alu instid0(SALU_CYCLE_3) | instskip(NEXT) | instid1(SALU_CYCLE_1)
	s_mul_u64 s[56:57], s[54:55], s[52:53]
	s_mul_hi_u32 s59, s52, s57
	s_mul_i32 s58, s52, s57
	s_mul_hi_u32 s8, s52, s56
	s_mul_i32 s37, s53, s56
	s_add_nc_u64 s[58:59], s[8:9], s[58:59]
	s_mul_hi_u32 s3, s53, s56
	s_mul_hi_u32 s60, s53, s57
	s_add_co_u32 s8, s58, s37
	s_add_co_ci_u32 s8, s59, s3
	s_mul_i32 s56, s53, s57
	s_add_co_ci_u32 s57, s60, 0
	s_delay_alu instid0(SALU_CYCLE_1) | instskip(NEXT) | instid1(SALU_CYCLE_1)
	s_add_nc_u64 s[56:57], s[8:9], s[56:57]
	s_add_co_u32 s52, s52, s56
	s_cselect_b32 s3, -1, 0
	s_delay_alu instid0(SALU_CYCLE_1) | instskip(SKIP_1) | instid1(SALU_CYCLE_1)
	s_cmp_lg_u32 s3, 0
	s_add_co_ci_u32 s53, s53, s57
	s_mul_u64 s[54:55], s[54:55], s[52:53]
	s_delay_alu instid0(SALU_CYCLE_1)
	s_mul_hi_u32 s57, s52, s55
	s_mul_i32 s56, s52, s55
	s_mul_hi_u32 s8, s52, s54
	s_mul_i32 s37, s53, s54
	s_add_nc_u64 s[56:57], s[8:9], s[56:57]
	s_mul_hi_u32 s3, s53, s54
	s_mul_hi_u32 s58, s53, s55
	s_add_co_u32 s8, s56, s37
	s_add_co_ci_u32 s8, s57, s3
	s_mul_i32 s54, s53, s55
	s_add_co_ci_u32 s55, s58, 0
	s_delay_alu instid0(SALU_CYCLE_1) | instskip(NEXT) | instid1(SALU_CYCLE_1)
	s_add_nc_u64 s[54:55], s[8:9], s[54:55]
	s_add_co_u32 s52, s52, s54
	s_cselect_b32 s3, -1, 0
	v_mul_hi_u32 v32, v24, s52
	s_cmp_lg_u32 s3, 0
	s_add_co_ci_u32 s8, s53, s55
	s_and_b64 s[54:55], s[52:53], s[30:31]
	v_mul_u64_e32 v[26:27], s[8:9], v[24:25]
	v_mul_u64_e32 v[8:9], s[54:55], v[28:29]
	;; [unrolled: 1-line block ×3, first 2 shown]
	s_delay_alu instid0(VALU_DEP_3) | instskip(NEXT) | instid1(VALU_DEP_1)
	v_add_nc_u64_e32 v[26:27], v[32:33], v[26:27]
	v_add_co_u32 v1, vcc_lo, v26, v8
	s_delay_alu instid0(VALU_DEP_2) | instskip(NEXT) | instid1(VALU_DEP_4)
	v_add_co_ci_u32_e32 v32, vcc_lo, v27, v9, vcc_lo
	v_add_co_ci_u32_e32 v31, vcc_lo, 0, v31, vcc_lo
	s_delay_alu instid0(VALU_DEP_1) | instskip(NEXT) | instid1(VALU_DEP_1)
	v_add_nc_u64_e32 v[8:9], v[32:33], v[30:31]
	v_mul_u64_e32 v[26:27], s[38:39], v[8:9]
	s_delay_alu instid0(VALU_DEP_1) | instskip(NEXT) | instid1(VALU_DEP_2)
	v_sub_nc_u32_e32 v1, v28, v27
	v_sub_co_u32 v11, vcc_lo, v24, v26
	s_delay_alu instid0(VALU_DEP_1) | instskip(NEXT) | instid1(VALU_DEP_3)
	v_sub_co_ci_u32_e64 v23, null, v28, v27, vcc_lo
	v_subrev_co_ci_u32_e64 v1, null, s39, v1, vcc_lo
	s_delay_alu instid0(VALU_DEP_3) | instskip(SKIP_1) | instid1(VALU_DEP_3)
	v_sub_co_u32 v21, s3, v11, s38
	v_add_nc_u64_e32 v[26:27], 1, v[8:9]
	v_subrev_co_ci_u32_e64 v1, null, 0, v1, s3
	s_delay_alu instid0(VALU_DEP_3) | instskip(SKIP_1) | instid1(VALU_DEP_3)
	v_cmp_le_u32_e32 vcc_lo, s38, v21
	v_cndmask_b32_e64 v21, 0, -1, vcc_lo
	v_cmp_le_u32_e32 vcc_lo, s39, v1
	v_cndmask_b32_e64 v24, 0, -1, vcc_lo
	;; [unrolled: 2-line block ×4, first 2 shown]
	v_cmp_eq_u32_e32 vcc_lo, s39, v1
	v_cndmask_b32_e32 v1, v24, v21, vcc_lo
	v_cmp_eq_u32_e32 vcc_lo, s39, v23
	v_add_nc_u64_e32 v[24:25], 2, v[8:9]
	v_cndmask_b32_e32 v11, v28, v11, vcc_lo
	s_delay_alu instid0(VALU_DEP_4) | instskip(NEXT) | instid1(VALU_DEP_2)
	v_cmp_ne_u32_e32 vcc_lo, 0, v1
	v_cmp_ne_u32_e64 s3, 0, v11
	s_delay_alu instid0(VALU_DEP_4) | instskip(NEXT) | instid1(VALU_DEP_1)
	v_dual_cndmask_b32 v1, v27, v25, vcc_lo :: v_dual_cndmask_b32 v11, v26, v24, vcc_lo
	v_dual_cndmask_b32 v1, v9, v1, s3 :: v_dual_cndmask_b32 v8, v8, v11, s3
	s_delay_alu instid0(VALU_DEP_1) | instskip(NEXT) | instid1(VALU_DEP_2)
	v_dual_mov_b32 v11, v10 :: v_dual_bitop2_b32 v9, v1, v10 bitop3:0x14
	v_xor_b32_e32 v8, v8, v10
	s_delay_alu instid0(VALU_DEP_1)
	v_sub_nc_u64_e32 v[10:11], v[8:9], v[10:11]
                                        ; implicit-def: $vgpr8_vgpr9
.LBB19_20:                              ;   in Loop: Header=BB19_17 Depth=3
	s_and_not1_saveexec_b32 s3, s51
	s_cbranch_execz .LBB19_22
; %bb.21:                               ;   in Loop: Header=BB19_17 Depth=3
	v_cvt_f32_u32_e32 v1, s14
	s_sub_co_i32 s8, 0, s14
	s_delay_alu instid0(VALU_DEP_1) | instskip(SKIP_1) | instid1(TRANS32_DEP_1)
	v_rcp_iflag_f32_e32 v1, v1
	v_nop
	v_mul_f32_e32 v1, 0x4f7ffffe, v1
	s_delay_alu instid0(VALU_DEP_1) | instskip(NEXT) | instid1(VALU_DEP_1)
	v_cvt_u32_f32_e32 v1, v1
	v_mul_lo_u32 v9, s8, v1
	s_delay_alu instid0(VALU_DEP_1) | instskip(NEXT) | instid1(VALU_DEP_1)
	v_mul_hi_u32 v9, v1, v9
	v_add_nc_u32_e32 v1, v1, v9
	s_delay_alu instid0(VALU_DEP_1) | instskip(NEXT) | instid1(VALU_DEP_1)
	v_mul_hi_u32 v1, v8, v1
	v_mul_lo_u32 v9, v1, s14
	s_delay_alu instid0(VALU_DEP_1) | instskip(SKIP_1) | instid1(VALU_DEP_2)
	v_sub_nc_u32_e32 v8, v8, v9
	v_add_nc_u32_e32 v9, 1, v1
	v_subrev_nc_u32_e32 v10, s14, v8
	v_cmp_le_u32_e32 vcc_lo, s14, v8
	s_delay_alu instid0(VALU_DEP_2) | instskip(NEXT) | instid1(VALU_DEP_1)
	v_dual_cndmask_b32 v8, v8, v10 :: v_dual_cndmask_b32 v1, v1, v9
	v_cmp_le_u32_e32 vcc_lo, s14, v8
	s_delay_alu instid0(VALU_DEP_2) | instskip(NEXT) | instid1(VALU_DEP_1)
	v_add_nc_u32_e32 v9, 1, v1
	v_cndmask_b32_e32 v10, v1, v9, vcc_lo
.LBB19_22:                              ;   in Loop: Header=BB19_17 Depth=3
	s_or_b32 exec_lo, exec_lo, s3
	global_load_u16 v21, v[6:7], off
	v_dual_sub_nc_u32 v1, 0, v22 :: v_dual_mov_b32 v9, v0
	s_mov_b32 s51, 0
	s_delay_alu instid0(VALU_DEP_1) | instskip(NEXT) | instid1(VALU_DEP_1)
	v_dual_ashrrev_i32 v11, 31, v22 :: v_dual_max_i32 v8, v22, v1
	v_xor_b32_e32 v11, s15, v11
	s_delay_alu instid0(VALU_DEP_2) | instskip(NEXT) | instid1(VALU_DEP_1)
	v_mul_u64_e32 v[24:25], s[26:27], v[8:9]
	v_mul_lo_u32 v1, v25, s43
	s_delay_alu instid0(VALU_DEP_1) | instskip(SKIP_1) | instid1(VALU_DEP_2)
	v_sub_nc_u32_e32 v1, v8, v1
	v_add_nc_u32_e32 v8, 1, v25
	v_cmp_le_u32_e32 vcc_lo, s43, v1
	s_delay_alu instid0(VALU_DEP_2) | instskip(SKIP_1) | instid1(VALU_DEP_1)
	v_cndmask_b32_e32 v8, v25, v8, vcc_lo
	v_subrev_nc_u32_e32 v9, s43, v1
	v_dual_cndmask_b32 v1, v1, v9, vcc_lo :: v_dual_add_nc_u32 v9, 1, v8
	s_delay_alu instid0(VALU_DEP_1) | instskip(NEXT) | instid1(VALU_DEP_2)
	v_cmp_le_u32_e32 vcc_lo, s43, v1
	v_cndmask_b32_e32 v1, v8, v9, vcc_lo
	s_delay_alu instid0(VALU_DEP_1) | instskip(NEXT) | instid1(VALU_DEP_1)
	v_xor_b32_e32 v1, v1, v11
	v_sub_nc_u32_e32 v1, v1, v11
	s_delay_alu instid0(VALU_DEP_1) | instskip(NEXT) | instid1(VALU_DEP_1)
	v_mul_lo_u32 v8, v1, s6
	v_sub_nc_u32_e32 v8, v22, v8
	s_delay_alu instid0(VALU_DEP_1) | instskip(NEXT) | instid1(VALU_DEP_1)
	v_mul_lo_u32 v11, v8, s4
	v_dual_mov_b32 v9, v0 :: v_dual_sub_nc_u32 v8, 0, v11
	s_delay_alu instid0(VALU_DEP_1) | instskip(SKIP_1) | instid1(VALU_DEP_2)
	v_dual_ashrrev_i32 v11, 31, v11 :: v_dual_max_i32 v8, v11, v8
	v_mul_lo_u32 v1, v1, s4
	v_mul_u64_e32 v[22:23], s[26:27], v[8:9]
	s_delay_alu instid0(VALU_DEP_3) | instskip(NEXT) | instid1(VALU_DEP_2)
	v_xor_b32_e32 v11, s15, v11
	v_mul_lo_u32 v9, v23, s43
	s_delay_alu instid0(VALU_DEP_1) | instskip(NEXT) | instid1(VALU_DEP_1)
	v_dual_sub_nc_u32 v8, v8, v9 :: v_dual_add_nc_u32 v9, 1, v23
	v_subrev_nc_u32_e32 v22, s43, v8
	v_cmp_le_u32_e32 vcc_lo, s43, v8
	s_delay_alu instid0(VALU_DEP_2) | instskip(NEXT) | instid1(VALU_DEP_1)
	v_dual_cndmask_b32 v9, v23, v9 :: v_dual_cndmask_b32 v8, v8, v22
	v_dual_mov_b32 v23, v18 :: v_dual_add_nc_u32 v22, 1, v9
	s_delay_alu instid0(VALU_DEP_2) | instskip(NEXT) | instid1(VALU_DEP_2)
	v_cmp_le_u32_e32 vcc_lo, s43, v8
	v_cndmask_b32_e32 v8, v9, v22, vcc_lo
	v_not_b32_e32 v9, v10
	s_delay_alu instid0(VALU_DEP_2) | instskip(NEXT) | instid1(VALU_DEP_1)
	v_xor_b32_e32 v8, v8, v11
	v_sub_nc_u32_e32 v8, v8, v11
	s_delay_alu instid0(VALU_DEP_1) | instskip(SKIP_1) | instid1(VALU_DEP_2)
	v_add3_u32 v1, v8, v1, v9
	v_add_nc_u32_e32 v9, 1, v18
	v_cvt_f32_i32_e32 v1, v1
	s_delay_alu instid0(VALU_DEP_1) | instskip(NEXT) | instid1(VALU_DEP_1)
	v_bfe_u32 v8, v1, 16, 1
	v_add3_u32 v1, v1, v8, 0x7fff
	s_delay_alu instid0(VALU_DEP_4) | instskip(NEXT) | instid1(VALU_DEP_2)
	v_mad_nc_i64_i32 v[8:9], s20, v9, -1
	v_and_b32_e32 v22, 0xffff0000, v1
	s_branch .LBB19_24
.LBB19_23:                              ;   in Loop: Header=BB19_24 Depth=4
	s_or_b32 exec_lo, exec_lo, s3
	v_dual_add_nc_u32 v1, v5, v23 :: v_dual_sub_nc_u32 v11, 0, v23
	v_mov_b32_e32 v25, v0
	s_delay_alu instid0(VALU_DEP_3) | instskip(SKIP_3) | instid1(VALU_DEP_1)
	v_not_b32_e32 v10, v10
	v_add_nc_u64_e32 v[8:9], s[20:21], v[8:9]
	global_load_u16 v1, v1, s[10:11] scale_offset
	v_max_i32_e32 v24, v23, v11
	v_mul_u64_e32 v[26:27], s[28:29], v[24:25]
	s_delay_alu instid0(VALU_DEP_1) | instskip(NEXT) | instid1(VALU_DEP_1)
	v_mul_lo_u32 v11, v27, s44
	v_sub_nc_u32_e32 v11, v24, v11
	s_delay_alu instid0(VALU_DEP_1) | instskip(SKIP_1) | instid1(VALU_DEP_1)
	v_cmp_le_u32_e32 vcc_lo, s44, v11
	v_add_nc_u32_e32 v24, 1, v27
	v_cndmask_b32_e32 v24, v27, v24, vcc_lo
	v_subrev_nc_u32_e32 v25, s44, v11
	s_delay_alu instid0(VALU_DEP_1) | instskip(NEXT) | instid1(VALU_DEP_3)
	v_dual_cndmask_b32 v11, v11, v25 :: v_dual_ashrrev_i32 v26, 31, v23
	v_add_nc_u32_e32 v25, 1, v24
	s_delay_alu instid0(VALU_DEP_2) | instskip(NEXT) | instid1(VALU_DEP_2)
	v_cmp_le_u32_e32 vcc_lo, s44, v11
	v_dual_cndmask_b32 v11, v24, v25, vcc_lo :: v_dual_bitop2_b32 v26, s19, v26 bitop3:0x14
	s_delay_alu instid0(VALU_DEP_1) | instskip(NEXT) | instid1(VALU_DEP_1)
	v_dual_mov_b32 v25, v0 :: v_dual_bitop2_b32 v11, v11, v26 bitop3:0x14
	v_sub_nc_u32_e32 v11, v11, v26
	s_delay_alu instid0(VALU_DEP_1) | instskip(SKIP_2) | instid1(VALU_DEP_3)
	v_mad_u32 v24, s45, v11, v23
	v_mul_lo_u32 v11, v11, s5
	v_add_nc_u32_e32 v23, 1, v23
	v_mul_lo_u32 v28, v24, s5
	s_delay_alu instid0(VALU_DEP_1) | instskip(SKIP_2) | instid1(VALU_DEP_1)
	v_sub_nc_u32_e32 v24, 0, v28
	s_wait_loadcnt 0x0
	s_wait_xcnt 0x0
	v_dual_lshlrev_b32 v1, 16, v1 :: v_dual_max_i32 v24, v28, v24
	s_delay_alu instid0(VALU_DEP_1) | instskip(NEXT) | instid1(VALU_DEP_2)
	v_mul_u64_e32 v[26:27], s[28:29], v[24:25]
	v_div_scale_f32 v26, null, v22, v22, v1
	v_div_scale_f32 v32, vcc_lo, v1, v22, v1
	s_delay_alu instid0(VALU_DEP_2) | instskip(NEXT) | instid1(VALU_DEP_3)
	v_rcp_f32_e32 v29, v26
	v_mul_lo_u32 v25, v27, s44
	s_delay_alu instid0(VALU_DEP_1) | instskip(NEXT) | instid1(TRANS32_DEP_1)
	v_dual_add_nc_u32 v30, 1, v27 :: v_dual_sub_nc_u32 v24, v24, v25
	v_fma_f32 v25, -v26, v29, 1.0
	s_delay_alu instid0(VALU_DEP_2) | instskip(SKIP_1) | instid1(VALU_DEP_1)
	v_subrev_nc_u32_e32 v31, s44, v24
	v_cmp_le_u32_e64 s3, s44, v24
	v_dual_fmac_f32 v29, v25, v29 :: v_dual_cndmask_b32 v25, v27, v30, s3
	s_delay_alu instid0(VALU_DEP_1) | instskip(NEXT) | instid1(VALU_DEP_2)
	v_dual_mul_f32 v28, v32, v29 :: v_dual_ashrrev_i32 v27, 31, v28
	v_dual_cndmask_b32 v24, v24, v31, s3 :: v_dual_add_nc_u32 v30, 1, v25
	s_delay_alu instid0(VALU_DEP_2) | instskip(NEXT) | instid1(VALU_DEP_2)
	v_dual_fma_f32 v31, -v26, v28, v32 :: v_dual_bitop2_b32 v27, s19, v27 bitop3:0x14
	v_cmp_le_u32_e64 s3, s44, v24
	s_delay_alu instid0(VALU_DEP_1) | instskip(NEXT) | instid1(VALU_DEP_1)
	v_dual_fmac_f32 v28, v31, v29 :: v_dual_cndmask_b32 v24, v25, v30, s3
	v_dual_fma_f32 v25, -v26, v28, v32 :: v_dual_bitop2_b32 v24, v24, v27 bitop3:0x14
	s_delay_alu instid0(VALU_DEP_1) | instskip(NEXT) | instid1(VALU_DEP_2)
	v_div_fmas_f32 v25, v25, v29, v28
	v_sub_nc_u32_e32 v24, v24, v27
	s_delay_alu instid0(VALU_DEP_2) | instskip(NEXT) | instid1(VALU_DEP_2)
	v_div_fixup_f32 v1, v25, v22, v1
	v_add3_u32 v10, v24, v11, v10
	s_delay_alu instid0(VALU_DEP_2) | instskip(NEXT) | instid1(VALU_DEP_2)
	v_bfe_u32 v11, v1, 16, 1
	v_cvt_f32_i32_e32 v10, v10
	v_cmp_o_f32_e32 vcc_lo, v1, v1
	s_delay_alu instid0(VALU_DEP_3) | instskip(NEXT) | instid1(VALU_DEP_3)
	v_add3_u32 v11, v1, v11, 0x7fff
	v_bfe_u32 v24, v10, 16, 1
	s_delay_alu instid0(VALU_DEP_2) | instskip(NEXT) | instid1(VALU_DEP_2)
	v_and_b32_e32 v11, 0xffff0000, v11
	v_add3_u32 v10, v10, v24, 0x7fff
	s_delay_alu instid0(VALU_DEP_2) | instskip(NEXT) | instid1(VALU_DEP_2)
	v_cndmask_b32_e32 v1, 0x7fc00000, v11, vcc_lo
	v_and_b32_e32 v10, 0xffff0000, v10
	s_delay_alu instid0(VALU_DEP_1) | instskip(NEXT) | instid1(VALU_DEP_1)
	v_div_scale_f32 v11, null, v10, v10, v1
	v_rcp_f32_e32 v24, v11
	v_nop
	s_delay_alu instid0(TRANS32_DEP_1) | instskip(NEXT) | instid1(VALU_DEP_1)
	v_fma_f32 v25, -v11, v24, 1.0
	v_fmac_f32_e32 v24, v25, v24
	v_div_scale_f32 v25, vcc_lo, v1, v10, v1
	s_delay_alu instid0(VALU_DEP_1) | instskip(NEXT) | instid1(VALU_DEP_1)
	v_mul_f32_e32 v26, v25, v24
	v_fma_f32 v27, -v11, v26, v25
	s_delay_alu instid0(VALU_DEP_1) | instskip(NEXT) | instid1(VALU_DEP_1)
	v_fmac_f32_e32 v26, v27, v24
	v_fma_f32 v11, -v11, v26, v25
	s_delay_alu instid0(VALU_DEP_1) | instskip(NEXT) | instid1(VALU_DEP_1)
	v_div_fmas_f32 v11, v11, v24, v26
	v_div_fixup_f32 v1, v11, v10, v1
	v_lshlrev_b32_e32 v11, 16, v21
	s_delay_alu instid0(VALU_DEP_2) | instskip(SKIP_1) | instid1(VALU_DEP_2)
	v_bfe_u32 v10, v1, 16, 1
	v_cmp_o_f32_e32 vcc_lo, v1, v1
	v_add3_u32 v10, v1, v10, 0x7fff
	s_delay_alu instid0(VALU_DEP_1) | instskip(NEXT) | instid1(VALU_DEP_1)
	v_and_b32_e32 v10, 0xffff0000, v10
	v_cndmask_b32_e32 v1, 0x7fc00000, v10, vcc_lo
	v_cmp_ge_i32_e32 vcc_lo, v23, v19
	s_delay_alu instid0(VALU_DEP_2) | instskip(SKIP_1) | instid1(VALU_DEP_1)
	v_add_f32_e32 v1, v1, v11
	s_or_b32 s51, vcc_lo, s51
	v_bfe_u32 v10, v1, 16, 1
	s_delay_alu instid0(VALU_DEP_1) | instskip(NEXT) | instid1(VALU_DEP_1)
	v_add3_u32 v10, v1, v10, 0x7fff
	v_lshrrev_b32_e32 v10, 16, v10
	v_cmp_o_f32_e64 s3, v1, v1
	s_delay_alu instid0(VALU_DEP_1)
	v_cndmask_b32_e64 v21, 0x7fc0, v10, s3
	global_store_b16 v[6:7], v21, off
	s_wait_xcnt 0x0
	s_and_not1_b32 exec_lo, exec_lo, s51
	s_cbranch_execz .LBB19_16
.LBB19_24:                              ;   Parent Loop BB19_3 Depth=1
                                        ;     Parent Loop BB19_10 Depth=2
                                        ;       Parent Loop BB19_17 Depth=3
                                        ; =>      This Inner Loop Header: Depth=4
	s_delay_alu instid0(VALU_DEP_2) | instskip(SKIP_2) | instid1(VALU_DEP_1)
	v_or_b32_e32 v1, s19, v9
                                        ; implicit-def: $vgpr10_vgpr11
	s_mov_b32 s3, exec_lo
	s_wait_xcnt 0x0
	v_cmpx_ne_u64_e32 0, v[0:1]
	s_xor_b32 s52, exec_lo, s3
	s_cbranch_execz .LBB19_26
; %bb.25:                               ;   in Loop: Header=BB19_24 Depth=4
	s_ashr_i32 s36, s19, 31
	v_dual_mov_b32 v27, v0 :: v_dual_ashrrev_i32 v10, 31, v9
	s_mov_b32 s37, s36
	s_delay_alu instid0(SALU_CYCLE_1) | instskip(NEXT) | instid1(VALU_DEP_1)
	s_add_nc_u64 s[38:39], s[18:19], s[36:37]
	v_mov_b32_e32 v11, v10
	s_xor_b64 s[38:39], s[38:39], s[36:37]
	s_delay_alu instid0(SALU_CYCLE_1)
	s_cvt_f32_u32 s3, s38
	s_cvt_f32_u32 s8, s39
	s_sub_nc_u64 s[56:57], 0, s[38:39]
	v_add_nc_u64_e32 v[24:25], v[8:9], v[10:11]
	v_mov_b32_e32 v31, v0
	s_fmamk_f32 s3, s8, 0x4f800000, s3
	s_delay_alu instid0(SALU_CYCLE_3) | instskip(NEXT) | instid1(VALU_DEP_2)
	v_s_rcp_f32 s3, s3
	v_xor_b32_e32 v26, v24, v10
	s_delay_alu instid0(VALU_DEP_3) | instskip(SKIP_1) | instid1(TRANS32_DEP_1)
	v_dual_mov_b32 v35, v0 :: v_dual_bitop2_b32 v30, v25, v10 bitop3:0x14
	v_xor_b32_e32 v10, s36, v10
	s_mul_f32 s3, s3, 0x5f7ffffc
	s_delay_alu instid0(SALU_CYCLE_3) | instskip(NEXT) | instid1(SALU_CYCLE_3)
	s_mul_f32 s8, s3, 0x2f800000
	s_trunc_f32 s8, s8
	s_delay_alu instid0(SALU_CYCLE_3) | instskip(SKIP_1) | instid1(SALU_CYCLE_2)
	s_fmamk_f32 s3, s8, 0xcf800000, s3
	s_cvt_u32_f32 s55, s8
	s_cvt_u32_f32 s54, s3
	s_delay_alu instid0(SALU_CYCLE_3) | instskip(NEXT) | instid1(SALU_CYCLE_1)
	s_mul_u64 s[58:59], s[56:57], s[54:55]
	s_mul_hi_u32 s61, s54, s59
	s_mul_i32 s60, s54, s59
	s_mul_hi_u32 s8, s54, s58
	s_mul_i32 s37, s55, s58
	s_add_nc_u64 s[60:61], s[8:9], s[60:61]
	s_mul_hi_u32 s3, s55, s58
	s_mul_hi_u32 s53, s55, s59
	s_add_co_u32 s8, s60, s37
	s_add_co_ci_u32 s8, s61, s3
	s_mul_i32 s58, s55, s59
	s_add_co_ci_u32 s59, s53, 0
	s_delay_alu instid0(SALU_CYCLE_1) | instskip(NEXT) | instid1(SALU_CYCLE_1)
	s_add_nc_u64 s[58:59], s[8:9], s[58:59]
	s_add_co_u32 s54, s54, s58
	s_cselect_b32 s3, -1, 0
	s_delay_alu instid0(SALU_CYCLE_1) | instskip(SKIP_1) | instid1(SALU_CYCLE_1)
	s_cmp_lg_u32 s3, 0
	s_add_co_ci_u32 s55, s55, s59
	s_mul_u64 s[56:57], s[56:57], s[54:55]
	s_delay_alu instid0(SALU_CYCLE_1)
	s_mul_hi_u32 s59, s54, s57
	s_mul_i32 s58, s54, s57
	s_mul_hi_u32 s8, s54, s56
	s_mul_i32 s37, s55, s56
	s_add_nc_u64 s[58:59], s[8:9], s[58:59]
	s_mul_hi_u32 s3, s55, s56
	s_mul_hi_u32 s53, s55, s57
	s_add_co_u32 s8, s58, s37
	s_add_co_ci_u32 s8, s59, s3
	s_mul_i32 s56, s55, s57
	s_add_co_ci_u32 s57, s53, 0
	s_delay_alu instid0(SALU_CYCLE_1) | instskip(NEXT) | instid1(SALU_CYCLE_1)
	s_add_nc_u64 s[56:57], s[8:9], s[56:57]
	s_add_co_u32 s54, s54, s56
	s_cselect_b32 s3, -1, 0
	v_mul_hi_u32 v34, v26, s54
	s_cmp_lg_u32 s3, 0
	s_add_co_ci_u32 s8, s55, s57
	s_and_b64 s[56:57], s[54:55], s[30:31]
	v_mul_u64_e32 v[28:29], s[8:9], v[26:27]
	v_mul_u64_e32 v[24:25], s[56:57], v[30:31]
	;; [unrolled: 1-line block ×3, first 2 shown]
	s_delay_alu instid0(VALU_DEP_3) | instskip(NEXT) | instid1(VALU_DEP_1)
	v_add_nc_u64_e32 v[28:29], v[34:35], v[28:29]
	v_add_co_u32 v1, vcc_lo, v28, v24
	s_delay_alu instid0(VALU_DEP_2) | instskip(NEXT) | instid1(VALU_DEP_4)
	v_add_co_ci_u32_e32 v34, vcc_lo, v29, v25, vcc_lo
	v_add_co_ci_u32_e32 v33, vcc_lo, 0, v33, vcc_lo
	s_delay_alu instid0(VALU_DEP_1) | instskip(NEXT) | instid1(VALU_DEP_1)
	v_add_nc_u64_e32 v[24:25], v[34:35], v[32:33]
	v_mul_u64_e32 v[28:29], s[38:39], v[24:25]
	s_delay_alu instid0(VALU_DEP_1) | instskip(NEXT) | instid1(VALU_DEP_2)
	v_sub_nc_u32_e32 v1, v30, v29
	v_sub_co_u32 v11, vcc_lo, v26, v28
	s_delay_alu instid0(VALU_DEP_1) | instskip(NEXT) | instid1(VALU_DEP_3)
	v_sub_co_ci_u32_e64 v30, null, v30, v29, vcc_lo
	v_subrev_co_ci_u32_e64 v1, null, s39, v1, vcc_lo
	s_delay_alu instid0(VALU_DEP_3) | instskip(SKIP_1) | instid1(VALU_DEP_3)
	v_sub_co_u32 v26, s3, v11, s38
	v_add_nc_u64_e32 v[28:29], 1, v[24:25]
	v_subrev_co_ci_u32_e64 v1, null, 0, v1, s3
	s_delay_alu instid0(VALU_DEP_3) | instskip(SKIP_1) | instid1(VALU_DEP_3)
	v_cmp_le_u32_e32 vcc_lo, s38, v26
	v_cndmask_b32_e64 v26, 0, -1, vcc_lo
	v_cmp_le_u32_e32 vcc_lo, s39, v1
	v_cndmask_b32_e64 v27, 0, -1, vcc_lo
	;; [unrolled: 2-line block ×4, first 2 shown]
	v_cmp_eq_u32_e32 vcc_lo, s39, v1
	v_cndmask_b32_e32 v1, v27, v26, vcc_lo
	v_cmp_eq_u32_e32 vcc_lo, s39, v30
	v_add_nc_u64_e32 v[26:27], 2, v[24:25]
	v_cndmask_b32_e32 v11, v31, v11, vcc_lo
	s_delay_alu instid0(VALU_DEP_4) | instskip(NEXT) | instid1(VALU_DEP_2)
	v_cmp_ne_u32_e32 vcc_lo, 0, v1
	v_cmp_ne_u32_e64 s3, 0, v11
	s_delay_alu instid0(VALU_DEP_4) | instskip(NEXT) | instid1(VALU_DEP_1)
	v_dual_cndmask_b32 v1, v29, v27, vcc_lo :: v_dual_cndmask_b32 v11, v28, v26, vcc_lo
	v_dual_cndmask_b32 v24, v24, v11, s3 :: v_dual_mov_b32 v11, v10
	s_delay_alu instid0(VALU_DEP_1) | instskip(NEXT) | instid1(VALU_DEP_1)
	v_dual_cndmask_b32 v1, v25, v1, s3 :: v_dual_bitop2_b32 v24, v24, v10 bitop3:0x14
	v_xor_b32_e32 v25, v1, v10
	s_delay_alu instid0(VALU_DEP_1)
	v_sub_nc_u64_e32 v[10:11], v[24:25], v[10:11]
.LBB19_26:                              ;   in Loop: Header=BB19_24 Depth=4
	s_and_not1_saveexec_b32 s3, s52
	s_cbranch_execz .LBB19_23
; %bb.27:                               ;   in Loop: Header=BB19_24 Depth=4
	v_cvt_f32_u32_e32 v1, s18
	s_sub_co_i32 s8, 0, s18
	s_delay_alu instid0(VALU_DEP_1) | instskip(SKIP_1) | instid1(TRANS32_DEP_1)
	v_rcp_iflag_f32_e32 v1, v1
	v_nop
	v_mul_f32_e32 v1, 0x4f7ffffe, v1
	s_delay_alu instid0(VALU_DEP_1) | instskip(NEXT) | instid1(VALU_DEP_1)
	v_cvt_u32_f32_e32 v1, v1
	v_mul_lo_u32 v10, s8, v1
	s_delay_alu instid0(VALU_DEP_1) | instskip(NEXT) | instid1(VALU_DEP_1)
	v_mul_hi_u32 v10, v1, v10
	v_add_nc_u32_e32 v1, v1, v10
	s_delay_alu instid0(VALU_DEP_1) | instskip(NEXT) | instid1(VALU_DEP_1)
	v_mul_hi_u32 v1, v8, v1
	v_mul_lo_u32 v10, v1, s18
	s_delay_alu instid0(VALU_DEP_1) | instskip(NEXT) | instid1(VALU_DEP_1)
	v_dual_add_nc_u32 v11, 1, v1 :: v_dual_sub_nc_u32 v10, v8, v10
	v_subrev_nc_u32_e32 v24, s18, v10
	v_cmp_le_u32_e32 vcc_lo, s18, v10
	s_delay_alu instid0(VALU_DEP_2) | instskip(NEXT) | instid1(VALU_DEP_1)
	v_dual_cndmask_b32 v10, v10, v24 :: v_dual_cndmask_b32 v1, v1, v11
	v_cmp_le_u32_e32 vcc_lo, s18, v10
	s_delay_alu instid0(VALU_DEP_2) | instskip(NEXT) | instid1(VALU_DEP_1)
	v_add_nc_u32_e32 v11, 1, v1
	v_cndmask_b32_e32 v10, v1, v11, vcc_lo
	s_branch .LBB19_23
.LBB19_28:
	s_endpgm
	.section	.rodata,"a",@progbits
	.p2align	6, 0x0
	.amdhsa_kernel _ZN2at6native12_GLOBAL__N_126adaptive_average_gradinputIN3c108BFloat16EEEvPT_PKS5_iiii
		.amdhsa_group_segment_fixed_size 0
		.amdhsa_private_segment_fixed_size 0
		.amdhsa_kernarg_size 288
		.amdhsa_user_sgpr_count 2
		.amdhsa_user_sgpr_dispatch_ptr 0
		.amdhsa_user_sgpr_queue_ptr 0
		.amdhsa_user_sgpr_kernarg_segment_ptr 1
		.amdhsa_user_sgpr_dispatch_id 0
		.amdhsa_user_sgpr_kernarg_preload_length 0
		.amdhsa_user_sgpr_kernarg_preload_offset 0
		.amdhsa_user_sgpr_private_segment_size 0
		.amdhsa_wavefront_size32 1
		.amdhsa_uses_dynamic_stack 0
		.amdhsa_enable_private_segment 0
		.amdhsa_system_sgpr_workgroup_id_x 1
		.amdhsa_system_sgpr_workgroup_id_y 1
		.amdhsa_system_sgpr_workgroup_id_z 0
		.amdhsa_system_sgpr_workgroup_info 0
		.amdhsa_system_vgpr_workitem_id 1
		.amdhsa_next_free_vgpr 36
		.amdhsa_next_free_sgpr 62
		.amdhsa_named_barrier_count 0
		.amdhsa_reserve_vcc 1
		.amdhsa_float_round_mode_32 0
		.amdhsa_float_round_mode_16_64 0
		.amdhsa_float_denorm_mode_32 3
		.amdhsa_float_denorm_mode_16_64 3
		.amdhsa_fp16_overflow 0
		.amdhsa_memory_ordered 1
		.amdhsa_forward_progress 1
		.amdhsa_inst_pref_size 42
		.amdhsa_round_robin_scheduling 0
		.amdhsa_exception_fp_ieee_invalid_op 0
		.amdhsa_exception_fp_denorm_src 0
		.amdhsa_exception_fp_ieee_div_zero 0
		.amdhsa_exception_fp_ieee_overflow 0
		.amdhsa_exception_fp_ieee_underflow 0
		.amdhsa_exception_fp_ieee_inexact 0
		.amdhsa_exception_int_div_zero 0
	.end_amdhsa_kernel
	.section	.text._ZN2at6native12_GLOBAL__N_126adaptive_average_gradinputIN3c108BFloat16EEEvPT_PKS5_iiii,"axG",@progbits,_ZN2at6native12_GLOBAL__N_126adaptive_average_gradinputIN3c108BFloat16EEEvPT_PKS5_iiii,comdat
.Lfunc_end19:
	.size	_ZN2at6native12_GLOBAL__N_126adaptive_average_gradinputIN3c108BFloat16EEEvPT_PKS5_iiii, .Lfunc_end19-_ZN2at6native12_GLOBAL__N_126adaptive_average_gradinputIN3c108BFloat16EEEvPT_PKS5_iiii
                                        ; -- End function
	.set _ZN2at6native12_GLOBAL__N_126adaptive_average_gradinputIN3c108BFloat16EEEvPT_PKS5_iiii.num_vgpr, 36
	.set _ZN2at6native12_GLOBAL__N_126adaptive_average_gradinputIN3c108BFloat16EEEvPT_PKS5_iiii.num_agpr, 0
	.set _ZN2at6native12_GLOBAL__N_126adaptive_average_gradinputIN3c108BFloat16EEEvPT_PKS5_iiii.numbered_sgpr, 62
	.set _ZN2at6native12_GLOBAL__N_126adaptive_average_gradinputIN3c108BFloat16EEEvPT_PKS5_iiii.num_named_barrier, 0
	.set _ZN2at6native12_GLOBAL__N_126adaptive_average_gradinputIN3c108BFloat16EEEvPT_PKS5_iiii.private_seg_size, 0
	.set _ZN2at6native12_GLOBAL__N_126adaptive_average_gradinputIN3c108BFloat16EEEvPT_PKS5_iiii.uses_vcc, 1
	.set _ZN2at6native12_GLOBAL__N_126adaptive_average_gradinputIN3c108BFloat16EEEvPT_PKS5_iiii.uses_flat_scratch, 0
	.set _ZN2at6native12_GLOBAL__N_126adaptive_average_gradinputIN3c108BFloat16EEEvPT_PKS5_iiii.has_dyn_sized_stack, 0
	.set _ZN2at6native12_GLOBAL__N_126adaptive_average_gradinputIN3c108BFloat16EEEvPT_PKS5_iiii.has_recursion, 0
	.set _ZN2at6native12_GLOBAL__N_126adaptive_average_gradinputIN3c108BFloat16EEEvPT_PKS5_iiii.has_indirect_call, 0
	.section	.AMDGPU.csdata,"",@progbits
; Kernel info:
; codeLenInByte = 5300
; TotalNumSgprs: 64
; NumVgprs: 36
; ScratchSize: 0
; MemoryBound: 0
; FloatMode: 240
; IeeeMode: 1
; LDSByteSize: 0 bytes/workgroup (compile time only)
; SGPRBlocks: 0
; VGPRBlocks: 2
; NumSGPRsForWavesPerEU: 64
; NumVGPRsForWavesPerEU: 36
; NamedBarCnt: 0
; Occupancy: 16
; WaveLimiterHint : 0
; COMPUTE_PGM_RSRC2:SCRATCH_EN: 0
; COMPUTE_PGM_RSRC2:USER_SGPR: 2
; COMPUTE_PGM_RSRC2:TRAP_HANDLER: 0
; COMPUTE_PGM_RSRC2:TGID_X_EN: 1
; COMPUTE_PGM_RSRC2:TGID_Y_EN: 1
; COMPUTE_PGM_RSRC2:TGID_Z_EN: 0
; COMPUTE_PGM_RSRC2:TIDIG_COMP_CNT: 1
	.section	.AMDGPU.gpr_maximums,"",@progbits
	.set amdgpu.max_num_vgpr, 0
	.set amdgpu.max_num_agpr, 0
	.set amdgpu.max_num_sgpr, 0
	.section	.AMDGPU.csdata,"",@progbits
	.type	__hip_cuid_ccb6d62383205a86,@object ; @__hip_cuid_ccb6d62383205a86
	.section	.bss,"aw",@nobits
	.globl	__hip_cuid_ccb6d62383205a86
__hip_cuid_ccb6d62383205a86:
	.byte	0                               ; 0x0
	.size	__hip_cuid_ccb6d62383205a86, 1

	.ident	"AMD clang version 22.0.0git (https://github.com/RadeonOpenCompute/llvm-project roc-7.2.4 26084 f58b06dce1f9c15707c5f808fd002e18c2accf7e)"
	.section	".note.GNU-stack","",@progbits
	.addrsig
	.addrsig_sym __hip_cuid_ccb6d62383205a86
	.amdgpu_metadata
---
amdhsa.kernels:
  - .args:
      - .actual_access:  read_only
        .address_space:  global
        .offset:         0
        .size:           8
        .value_kind:     global_buffer
      - .actual_access:  write_only
        .address_space:  global
        .offset:         8
        .size:           8
        .value_kind:     global_buffer
      - .offset:         16
        .size:           4
        .value_kind:     by_value
      - .offset:         20
        .size:           4
        .value_kind:     by_value
      - .offset:         24
        .size:           4
        .value_kind:     by_value
      - .offset:         28
        .size:           4
        .value_kind:     by_value
      - .offset:         32
        .size:           4
        .value_kind:     by_value
      - .offset:         36
        .size:           4
        .value_kind:     by_value
      - .offset:         40
        .size:           4
        .value_kind:     by_value
      - .offset:         44
        .size:           4
        .value_kind:     by_value
      - .offset:         48
        .size:           4
        .value_kind:     by_value
      - .offset:         52
        .size:           4
        .value_kind:     by_value
      - .offset:         56
        .size:           4
        .value_kind:     by_value
      - .offset:         60
        .size:           4
        .value_kind:     by_value
      - .offset:         64
        .size:           4
        .value_kind:     hidden_block_count_x
      - .offset:         68
        .size:           4
        .value_kind:     hidden_block_count_y
      - .offset:         72
        .size:           4
        .value_kind:     hidden_block_count_z
      - .offset:         76
        .size:           2
        .value_kind:     hidden_group_size_x
      - .offset:         78
        .size:           2
        .value_kind:     hidden_group_size_y
      - .offset:         80
        .size:           2
        .value_kind:     hidden_group_size_z
      - .offset:         82
        .size:           2
        .value_kind:     hidden_remainder_x
      - .offset:         84
        .size:           2
        .value_kind:     hidden_remainder_y
      - .offset:         86
        .size:           2
        .value_kind:     hidden_remainder_z
      - .offset:         104
        .size:           8
        .value_kind:     hidden_global_offset_x
      - .offset:         112
        .size:           8
        .value_kind:     hidden_global_offset_y
      - .offset:         120
        .size:           8
        .value_kind:     hidden_global_offset_z
      - .offset:         128
        .size:           2
        .value_kind:     hidden_grid_dims
      - .offset:         184
        .size:           4
        .value_kind:     hidden_dynamic_lds_size
    .group_segment_fixed_size: 0
    .kernarg_segment_align: 8
    .kernarg_segment_size: 320
    .language:       OpenCL C
    .language_version:
      - 2
      - 0
    .max_flat_workgroup_size: 1024
    .name:           _ZN2at6native12_GLOBAL__N_126adaptive_average_pool_nhwcIidEEvPKT0_PS3_iiiiiiiiT_S7_S7_S7_
    .private_segment_fixed_size: 0
    .sgpr_count:     41
    .sgpr_spill_count: 0
    .symbol:         _ZN2at6native12_GLOBAL__N_126adaptive_average_pool_nhwcIidEEvPKT0_PS3_iiiiiiiiT_S7_S7_S7_.kd
    .uniform_work_group_size: 1
    .uses_dynamic_stack: false
    .vgpr_count:     32
    .vgpr_spill_count: 0
    .wavefront_size: 32
  - .args:
      - .actual_access:  read_only
        .address_space:  global
        .offset:         0
        .size:           8
        .value_kind:     global_buffer
      - .actual_access:  write_only
        .address_space:  global
        .offset:         8
        .size:           8
        .value_kind:     global_buffer
      - .offset:         16
        .size:           4
        .value_kind:     by_value
      - .offset:         20
        .size:           4
        .value_kind:     by_value
      - .offset:         24
        .size:           4
        .value_kind:     by_value
      - .offset:         28
        .size:           4
        .value_kind:     by_value
      - .offset:         32
        .size:           4
        .value_kind:     by_value
      - .offset:         36
        .size:           4
        .value_kind:     by_value
      - .offset:         40
        .size:           4
        .value_kind:     by_value
      - .offset:         44
        .size:           4
        .value_kind:     by_value
      - .offset:         48
        .size:           4
        .value_kind:     by_value
      - .offset:         52
        .size:           4
        .value_kind:     by_value
      - .offset:         56
        .size:           4
        .value_kind:     by_value
      - .offset:         60
        .size:           4
        .value_kind:     by_value
      - .offset:         64
        .size:           4
        .value_kind:     hidden_block_count_x
      - .offset:         68
        .size:           4
        .value_kind:     hidden_block_count_y
      - .offset:         72
        .size:           4
        .value_kind:     hidden_block_count_z
      - .offset:         76
        .size:           2
        .value_kind:     hidden_group_size_x
      - .offset:         78
        .size:           2
        .value_kind:     hidden_group_size_y
      - .offset:         80
        .size:           2
        .value_kind:     hidden_group_size_z
      - .offset:         82
        .size:           2
        .value_kind:     hidden_remainder_x
      - .offset:         84
        .size:           2
        .value_kind:     hidden_remainder_y
      - .offset:         86
        .size:           2
        .value_kind:     hidden_remainder_z
      - .offset:         104
        .size:           8
        .value_kind:     hidden_global_offset_x
      - .offset:         112
        .size:           8
        .value_kind:     hidden_global_offset_y
      - .offset:         120
        .size:           8
        .value_kind:     hidden_global_offset_z
      - .offset:         128
        .size:           2
        .value_kind:     hidden_grid_dims
      - .offset:         184
        .size:           4
        .value_kind:     hidden_dynamic_lds_size
    .group_segment_fixed_size: 0
    .kernarg_segment_align: 8
    .kernarg_segment_size: 320
    .language:       OpenCL C
    .language_version:
      - 2
      - 0
    .max_flat_workgroup_size: 1024
    .name:           _ZN2at6native12_GLOBAL__N_126adaptive_average_pool_nhwcIifEEvPKT0_PS3_iiiiiiiiT_S7_S7_S7_
    .private_segment_fixed_size: 0
    .sgpr_count:     41
    .sgpr_spill_count: 0
    .symbol:         _ZN2at6native12_GLOBAL__N_126adaptive_average_pool_nhwcIifEEvPKT0_PS3_iiiiiiiiT_S7_S7_S7_.kd
    .uniform_work_group_size: 1
    .uses_dynamic_stack: false
    .vgpr_count:     28
    .vgpr_spill_count: 0
    .wavefront_size: 32
  - .args:
      - .actual_access:  read_only
        .address_space:  global
        .offset:         0
        .size:           8
        .value_kind:     global_buffer
      - .actual_access:  write_only
        .address_space:  global
        .offset:         8
        .size:           8
        .value_kind:     global_buffer
      - .offset:         16
        .size:           4
        .value_kind:     by_value
      - .offset:         20
        .size:           4
        .value_kind:     by_value
      - .offset:         24
        .size:           4
        .value_kind:     by_value
      - .offset:         28
        .size:           4
        .value_kind:     by_value
      - .offset:         32
        .size:           4
        .value_kind:     by_value
      - .offset:         36
        .size:           4
        .value_kind:     by_value
      - .offset:         40
        .size:           4
        .value_kind:     by_value
      - .offset:         44
        .size:           4
        .value_kind:     by_value
      - .offset:         48
        .size:           4
        .value_kind:     by_value
      - .offset:         52
        .size:           4
        .value_kind:     by_value
      - .offset:         56
        .size:           4
        .value_kind:     by_value
      - .offset:         60
        .size:           4
        .value_kind:     by_value
      - .offset:         64
        .size:           4
        .value_kind:     hidden_block_count_x
      - .offset:         68
        .size:           4
        .value_kind:     hidden_block_count_y
      - .offset:         72
        .size:           4
        .value_kind:     hidden_block_count_z
      - .offset:         76
        .size:           2
        .value_kind:     hidden_group_size_x
      - .offset:         78
        .size:           2
        .value_kind:     hidden_group_size_y
      - .offset:         80
        .size:           2
        .value_kind:     hidden_group_size_z
      - .offset:         82
        .size:           2
        .value_kind:     hidden_remainder_x
      - .offset:         84
        .size:           2
        .value_kind:     hidden_remainder_y
      - .offset:         86
        .size:           2
        .value_kind:     hidden_remainder_z
      - .offset:         104
        .size:           8
        .value_kind:     hidden_global_offset_x
      - .offset:         112
        .size:           8
        .value_kind:     hidden_global_offset_y
      - .offset:         120
        .size:           8
        .value_kind:     hidden_global_offset_z
      - .offset:         128
        .size:           2
        .value_kind:     hidden_grid_dims
      - .offset:         184
        .size:           4
        .value_kind:     hidden_dynamic_lds_size
    .group_segment_fixed_size: 0
    .kernarg_segment_align: 8
    .kernarg_segment_size: 320
    .language:       OpenCL C
    .language_version:
      - 2
      - 0
    .max_flat_workgroup_size: 1024
    .name:           _ZN2at6native12_GLOBAL__N_126adaptive_average_pool_nhwcIiN3c104HalfEEEvPKT0_PS5_iiiiiiiiT_S9_S9_S9_
    .private_segment_fixed_size: 0
    .sgpr_count:     41
    .sgpr_spill_count: 0
    .symbol:         _ZN2at6native12_GLOBAL__N_126adaptive_average_pool_nhwcIiN3c104HalfEEEvPKT0_PS5_iiiiiiiiT_S9_S9_S9_.kd
    .uniform_work_group_size: 1
    .uses_dynamic_stack: false
    .vgpr_count:     28
    .vgpr_spill_count: 0
    .wavefront_size: 32
  - .args:
      - .actual_access:  read_only
        .address_space:  global
        .offset:         0
        .size:           8
        .value_kind:     global_buffer
      - .actual_access:  write_only
        .address_space:  global
        .offset:         8
        .size:           8
        .value_kind:     global_buffer
      - .offset:         16
        .size:           4
        .value_kind:     by_value
      - .offset:         20
        .size:           4
        .value_kind:     by_value
      - .offset:         24
        .size:           4
        .value_kind:     by_value
      - .offset:         28
        .size:           4
        .value_kind:     by_value
      - .offset:         32
        .size:           4
        .value_kind:     by_value
      - .offset:         36
        .size:           4
        .value_kind:     by_value
      - .offset:         40
        .size:           4
        .value_kind:     by_value
      - .offset:         44
        .size:           4
        .value_kind:     by_value
      - .offset:         48
        .size:           4
        .value_kind:     by_value
      - .offset:         52
        .size:           4
        .value_kind:     by_value
      - .offset:         56
        .size:           4
        .value_kind:     by_value
      - .offset:         60
        .size:           4
        .value_kind:     by_value
      - .offset:         64
        .size:           4
        .value_kind:     hidden_block_count_x
      - .offset:         68
        .size:           4
        .value_kind:     hidden_block_count_y
      - .offset:         72
        .size:           4
        .value_kind:     hidden_block_count_z
      - .offset:         76
        .size:           2
        .value_kind:     hidden_group_size_x
      - .offset:         78
        .size:           2
        .value_kind:     hidden_group_size_y
      - .offset:         80
        .size:           2
        .value_kind:     hidden_group_size_z
      - .offset:         82
        .size:           2
        .value_kind:     hidden_remainder_x
      - .offset:         84
        .size:           2
        .value_kind:     hidden_remainder_y
      - .offset:         86
        .size:           2
        .value_kind:     hidden_remainder_z
      - .offset:         104
        .size:           8
        .value_kind:     hidden_global_offset_x
      - .offset:         112
        .size:           8
        .value_kind:     hidden_global_offset_y
      - .offset:         120
        .size:           8
        .value_kind:     hidden_global_offset_z
      - .offset:         128
        .size:           2
        .value_kind:     hidden_grid_dims
      - .offset:         184
        .size:           4
        .value_kind:     hidden_dynamic_lds_size
    .group_segment_fixed_size: 0
    .kernarg_segment_align: 8
    .kernarg_segment_size: 320
    .language:       OpenCL C
    .language_version:
      - 2
      - 0
    .max_flat_workgroup_size: 1024
    .name:           _ZN2at6native12_GLOBAL__N_126adaptive_average_pool_nhwcIiN3c108BFloat16EEEvPKT0_PS5_iiiiiiiiT_S9_S9_S9_
    .private_segment_fixed_size: 0
    .sgpr_count:     41
    .sgpr_spill_count: 0
    .symbol:         _ZN2at6native12_GLOBAL__N_126adaptive_average_pool_nhwcIiN3c108BFloat16EEEvPKT0_PS5_iiiiiiiiT_S9_S9_S9_.kd
    .uniform_work_group_size: 1
    .uses_dynamic_stack: false
    .vgpr_count:     28
    .vgpr_spill_count: 0
    .wavefront_size: 32
  - .args:
      - .address_space:  global
        .offset:         0
        .size:           8
        .value_kind:     global_buffer
      - .address_space:  global
        .offset:         8
        .size:           8
        .value_kind:     global_buffer
      - .offset:         16
        .size:           4
        .value_kind:     by_value
      - .offset:         20
        .size:           4
        .value_kind:     by_value
      - .offset:         24
        .size:           4
        .value_kind:     by_value
      - .offset:         28
        .size:           4
        .value_kind:     by_value
      - .offset:         32
        .size:           8
        .value_kind:     by_value
      - .offset:         40
        .size:           8
        .value_kind:     by_value
      - .offset:         48
        .size:           8
        .value_kind:     by_value
      - .offset:         56
        .size:           4
        .value_kind:     hidden_block_count_x
      - .offset:         60
        .size:           4
        .value_kind:     hidden_block_count_y
      - .offset:         64
        .size:           4
        .value_kind:     hidden_block_count_z
      - .offset:         68
        .size:           2
        .value_kind:     hidden_group_size_x
      - .offset:         70
        .size:           2
        .value_kind:     hidden_group_size_y
      - .offset:         72
        .size:           2
        .value_kind:     hidden_group_size_z
      - .offset:         74
        .size:           2
        .value_kind:     hidden_remainder_x
      - .offset:         76
        .size:           2
        .value_kind:     hidden_remainder_y
      - .offset:         78
        .size:           2
        .value_kind:     hidden_remainder_z
      - .offset:         96
        .size:           8
        .value_kind:     hidden_global_offset_x
      - .offset:         104
        .size:           8
        .value_kind:     hidden_global_offset_y
      - .offset:         112
        .size:           8
        .value_kind:     hidden_global_offset_z
      - .offset:         120
        .size:           2
        .value_kind:     hidden_grid_dims
    .group_segment_fixed_size: 0
    .kernarg_segment_align: 8
    .kernarg_segment_size: 312
    .language:       OpenCL C
    .language_version:
      - 2
      - 0
    .max_flat_workgroup_size: 1024
    .name:           _ZN2at6native12_GLOBAL__N_121adaptive_average_poolIdEEvPKT_PS3_iiiilll
    .private_segment_fixed_size: 0
    .sgpr_count:     54
    .sgpr_spill_count: 0
    .symbol:         _ZN2at6native12_GLOBAL__N_121adaptive_average_poolIdEEvPKT_PS3_iiiilll.kd
    .uniform_work_group_size: 1
    .uses_dynamic_stack: false
    .vgpr_count:     26
    .vgpr_spill_count: 0
    .wavefront_size: 32
  - .args:
      - .address_space:  global
        .offset:         0
        .size:           8
        .value_kind:     global_buffer
      - .address_space:  global
        .offset:         8
        .size:           8
        .value_kind:     global_buffer
      - .offset:         16
        .size:           4
        .value_kind:     by_value
      - .offset:         20
        .size:           4
        .value_kind:     by_value
      - .offset:         24
        .size:           4
        .value_kind:     by_value
      - .offset:         28
        .size:           4
        .value_kind:     by_value
      - .offset:         32
        .size:           8
        .value_kind:     by_value
      - .offset:         40
        .size:           8
        .value_kind:     by_value
      - .offset:         48
        .size:           8
        .value_kind:     by_value
      - .offset:         56
        .size:           4
        .value_kind:     hidden_block_count_x
      - .offset:         60
        .size:           4
        .value_kind:     hidden_block_count_y
      - .offset:         64
        .size:           4
        .value_kind:     hidden_block_count_z
      - .offset:         68
        .size:           2
        .value_kind:     hidden_group_size_x
      - .offset:         70
        .size:           2
        .value_kind:     hidden_group_size_y
      - .offset:         72
        .size:           2
        .value_kind:     hidden_group_size_z
      - .offset:         74
        .size:           2
        .value_kind:     hidden_remainder_x
      - .offset:         76
        .size:           2
        .value_kind:     hidden_remainder_y
      - .offset:         78
        .size:           2
        .value_kind:     hidden_remainder_z
      - .offset:         96
        .size:           8
        .value_kind:     hidden_global_offset_x
      - .offset:         104
        .size:           8
        .value_kind:     hidden_global_offset_y
      - .offset:         112
        .size:           8
        .value_kind:     hidden_global_offset_z
      - .offset:         120
        .size:           2
        .value_kind:     hidden_grid_dims
    .group_segment_fixed_size: 0
    .kernarg_segment_align: 8
    .kernarg_segment_size: 312
    .language:       OpenCL C
    .language_version:
      - 2
      - 0
    .max_flat_workgroup_size: 1024
    .name:           _ZN2at6native12_GLOBAL__N_121adaptive_average_poolIfEEvPKT_PS3_iiiilll
    .private_segment_fixed_size: 0
    .sgpr_count:     54
    .sgpr_spill_count: 0
    .symbol:         _ZN2at6native12_GLOBAL__N_121adaptive_average_poolIfEEvPKT_PS3_iiiilll.kd
    .uniform_work_group_size: 1
    .uses_dynamic_stack: false
    .vgpr_count:     26
    .vgpr_spill_count: 0
    .wavefront_size: 32
  - .args:
      - .address_space:  global
        .offset:         0
        .size:           8
        .value_kind:     global_buffer
      - .address_space:  global
        .offset:         8
        .size:           8
        .value_kind:     global_buffer
      - .offset:         16
        .size:           4
        .value_kind:     by_value
      - .offset:         20
        .size:           4
        .value_kind:     by_value
      - .offset:         24
        .size:           4
        .value_kind:     by_value
      - .offset:         28
        .size:           4
        .value_kind:     by_value
      - .offset:         32
        .size:           8
        .value_kind:     by_value
      - .offset:         40
        .size:           8
        .value_kind:     by_value
      - .offset:         48
        .size:           8
        .value_kind:     by_value
      - .offset:         56
        .size:           4
        .value_kind:     hidden_block_count_x
      - .offset:         60
        .size:           4
        .value_kind:     hidden_block_count_y
      - .offset:         64
        .size:           4
        .value_kind:     hidden_block_count_z
      - .offset:         68
        .size:           2
        .value_kind:     hidden_group_size_x
      - .offset:         70
        .size:           2
        .value_kind:     hidden_group_size_y
      - .offset:         72
        .size:           2
        .value_kind:     hidden_group_size_z
      - .offset:         74
        .size:           2
        .value_kind:     hidden_remainder_x
      - .offset:         76
        .size:           2
        .value_kind:     hidden_remainder_y
      - .offset:         78
        .size:           2
        .value_kind:     hidden_remainder_z
      - .offset:         96
        .size:           8
        .value_kind:     hidden_global_offset_x
      - .offset:         104
        .size:           8
        .value_kind:     hidden_global_offset_y
      - .offset:         112
        .size:           8
        .value_kind:     hidden_global_offset_z
      - .offset:         120
        .size:           2
        .value_kind:     hidden_grid_dims
    .group_segment_fixed_size: 0
    .kernarg_segment_align: 8
    .kernarg_segment_size: 312
    .language:       OpenCL C
    .language_version:
      - 2
      - 0
    .max_flat_workgroup_size: 1024
    .name:           _ZN2at6native12_GLOBAL__N_121adaptive_average_poolIN3c104HalfEEEvPKT_PS5_iiiilll
    .private_segment_fixed_size: 0
    .sgpr_count:     54
    .sgpr_spill_count: 0
    .symbol:         _ZN2at6native12_GLOBAL__N_121adaptive_average_poolIN3c104HalfEEEvPKT_PS5_iiiilll.kd
    .uniform_work_group_size: 1
    .uses_dynamic_stack: false
    .vgpr_count:     26
    .vgpr_spill_count: 0
    .wavefront_size: 32
  - .args:
      - .address_space:  global
        .offset:         0
        .size:           8
        .value_kind:     global_buffer
      - .address_space:  global
        .offset:         8
        .size:           8
        .value_kind:     global_buffer
      - .offset:         16
        .size:           4
        .value_kind:     by_value
      - .offset:         20
        .size:           4
        .value_kind:     by_value
      - .offset:         24
        .size:           4
        .value_kind:     by_value
      - .offset:         28
        .size:           4
        .value_kind:     by_value
      - .offset:         32
        .size:           8
        .value_kind:     by_value
      - .offset:         40
        .size:           8
        .value_kind:     by_value
      - .offset:         48
        .size:           8
        .value_kind:     by_value
      - .offset:         56
        .size:           4
        .value_kind:     hidden_block_count_x
      - .offset:         60
        .size:           4
        .value_kind:     hidden_block_count_y
      - .offset:         64
        .size:           4
        .value_kind:     hidden_block_count_z
      - .offset:         68
        .size:           2
        .value_kind:     hidden_group_size_x
      - .offset:         70
        .size:           2
        .value_kind:     hidden_group_size_y
      - .offset:         72
        .size:           2
        .value_kind:     hidden_group_size_z
      - .offset:         74
        .size:           2
        .value_kind:     hidden_remainder_x
      - .offset:         76
        .size:           2
        .value_kind:     hidden_remainder_y
      - .offset:         78
        .size:           2
        .value_kind:     hidden_remainder_z
      - .offset:         96
        .size:           8
        .value_kind:     hidden_global_offset_x
      - .offset:         104
        .size:           8
        .value_kind:     hidden_global_offset_y
      - .offset:         112
        .size:           8
        .value_kind:     hidden_global_offset_z
      - .offset:         120
        .size:           2
        .value_kind:     hidden_grid_dims
    .group_segment_fixed_size: 0
    .kernarg_segment_align: 8
    .kernarg_segment_size: 312
    .language:       OpenCL C
    .language_version:
      - 2
      - 0
    .max_flat_workgroup_size: 1024
    .name:           _ZN2at6native12_GLOBAL__N_121adaptive_average_poolIN3c108BFloat16EEEvPKT_PS5_iiiilll
    .private_segment_fixed_size: 0
    .sgpr_count:     54
    .sgpr_spill_count: 0
    .symbol:         _ZN2at6native12_GLOBAL__N_121adaptive_average_poolIN3c108BFloat16EEEvPKT_PS5_iiiilll.kd
    .uniform_work_group_size: 1
    .uses_dynamic_stack: false
    .vgpr_count:     26
    .vgpr_spill_count: 0
    .wavefront_size: 32
  - .args:
      - .actual_access:  write_only
        .address_space:  global
        .offset:         0
        .size:           8
        .value_kind:     global_buffer
      - .actual_access:  read_only
        .address_space:  global
        .offset:         8
        .size:           8
        .value_kind:     global_buffer
      - .offset:         16
        .size:           4
        .value_kind:     by_value
      - .offset:         20
        .size:           4
        .value_kind:     by_value
      - .offset:         24
        .size:           4
        .value_kind:     by_value
      - .offset:         28
        .size:           4
        .value_kind:     by_value
      - .offset:         32
        .size:           4
        .value_kind:     by_value
      - .offset:         36
        .size:           4
        .value_kind:     by_value
      - .offset:         40
        .size:           4
        .value_kind:     by_value
      - .offset:         44
        .size:           4
        .value_kind:     by_value
      - .offset:         48
        .size:           4
        .value_kind:     by_value
      - .offset:         52
        .size:           4
        .value_kind:     by_value
      - .offset:         56
        .size:           4
        .value_kind:     by_value
      - .offset:         60
        .size:           4
        .value_kind:     by_value
      - .offset:         64
        .size:           4
        .value_kind:     hidden_block_count_x
      - .offset:         68
        .size:           4
        .value_kind:     hidden_block_count_y
      - .offset:         72
        .size:           4
        .value_kind:     hidden_block_count_z
      - .offset:         76
        .size:           2
        .value_kind:     hidden_group_size_x
      - .offset:         78
        .size:           2
        .value_kind:     hidden_group_size_y
      - .offset:         80
        .size:           2
        .value_kind:     hidden_group_size_z
      - .offset:         82
        .size:           2
        .value_kind:     hidden_remainder_x
      - .offset:         84
        .size:           2
        .value_kind:     hidden_remainder_y
      - .offset:         86
        .size:           2
        .value_kind:     hidden_remainder_z
      - .offset:         104
        .size:           8
        .value_kind:     hidden_global_offset_x
      - .offset:         112
        .size:           8
        .value_kind:     hidden_global_offset_y
      - .offset:         120
        .size:           8
        .value_kind:     hidden_global_offset_z
      - .offset:         128
        .size:           2
        .value_kind:     hidden_grid_dims
      - .offset:         184
        .size:           4
        .value_kind:     hidden_dynamic_lds_size
    .group_segment_fixed_size: 0
    .kernarg_segment_align: 8
    .kernarg_segment_size: 320
    .language:       OpenCL C
    .language_version:
      - 2
      - 0
    .max_flat_workgroup_size: 1024
    .name:           _ZN2at6native12_GLOBAL__N_131adaptive_average_gradinput_nhwcIidEEvPT0_PKS3_iiiiiiiiT_S7_S7_S7_
    .private_segment_fixed_size: 0
    .sgpr_count:     38
    .sgpr_spill_count: 0
    .symbol:         _ZN2at6native12_GLOBAL__N_131adaptive_average_gradinput_nhwcIidEEvPT0_PKS3_iiiiiiiiT_S7_S7_S7_.kd
    .uniform_work_group_size: 1
    .uses_dynamic_stack: false
    .vgpr_count:     34
    .vgpr_spill_count: 0
    .wavefront_size: 32
  - .args:
      - .actual_access:  write_only
        .address_space:  global
        .offset:         0
        .size:           8
        .value_kind:     global_buffer
      - .actual_access:  read_only
        .address_space:  global
        .offset:         8
        .size:           8
        .value_kind:     global_buffer
      - .offset:         16
        .size:           4
        .value_kind:     by_value
      - .offset:         20
        .size:           4
        .value_kind:     by_value
      - .offset:         24
        .size:           4
        .value_kind:     by_value
      - .offset:         28
        .size:           4
        .value_kind:     by_value
      - .offset:         32
        .size:           4
        .value_kind:     by_value
      - .offset:         36
        .size:           4
        .value_kind:     by_value
      - .offset:         40
        .size:           4
        .value_kind:     by_value
      - .offset:         44
        .size:           4
        .value_kind:     by_value
      - .offset:         48
        .size:           4
        .value_kind:     by_value
      - .offset:         52
        .size:           4
        .value_kind:     by_value
      - .offset:         56
        .size:           4
        .value_kind:     by_value
      - .offset:         60
        .size:           4
        .value_kind:     by_value
      - .offset:         64
        .size:           4
        .value_kind:     hidden_block_count_x
      - .offset:         68
        .size:           4
        .value_kind:     hidden_block_count_y
      - .offset:         72
        .size:           4
        .value_kind:     hidden_block_count_z
      - .offset:         76
        .size:           2
        .value_kind:     hidden_group_size_x
      - .offset:         78
        .size:           2
        .value_kind:     hidden_group_size_y
      - .offset:         80
        .size:           2
        .value_kind:     hidden_group_size_z
      - .offset:         82
        .size:           2
        .value_kind:     hidden_remainder_x
      - .offset:         84
        .size:           2
        .value_kind:     hidden_remainder_y
      - .offset:         86
        .size:           2
        .value_kind:     hidden_remainder_z
      - .offset:         104
        .size:           8
        .value_kind:     hidden_global_offset_x
      - .offset:         112
        .size:           8
        .value_kind:     hidden_global_offset_y
      - .offset:         120
        .size:           8
        .value_kind:     hidden_global_offset_z
      - .offset:         128
        .size:           2
        .value_kind:     hidden_grid_dims
      - .offset:         184
        .size:           4
        .value_kind:     hidden_dynamic_lds_size
    .group_segment_fixed_size: 0
    .kernarg_segment_align: 8
    .kernarg_segment_size: 320
    .language:       OpenCL C
    .language_version:
      - 2
      - 0
    .max_flat_workgroup_size: 1024
    .name:           _ZN2at6native12_GLOBAL__N_131adaptive_average_gradinput_nhwcIifEEvPT0_PKS3_iiiiiiiiT_S7_S7_S7_
    .private_segment_fixed_size: 0
    .sgpr_count:     43
    .sgpr_spill_count: 0
    .symbol:         _ZN2at6native12_GLOBAL__N_131adaptive_average_gradinput_nhwcIifEEvPT0_PKS3_iiiiiiiiT_S7_S7_S7_.kd
    .uniform_work_group_size: 1
    .uses_dynamic_stack: false
    .vgpr_count:     30
    .vgpr_spill_count: 0
    .wavefront_size: 32
  - .args:
      - .actual_access:  write_only
        .address_space:  global
        .offset:         0
        .size:           8
        .value_kind:     global_buffer
      - .actual_access:  read_only
        .address_space:  global
        .offset:         8
        .size:           8
        .value_kind:     global_buffer
      - .offset:         16
        .size:           4
        .value_kind:     by_value
      - .offset:         20
        .size:           4
        .value_kind:     by_value
      - .offset:         24
        .size:           4
        .value_kind:     by_value
      - .offset:         28
        .size:           4
        .value_kind:     by_value
      - .offset:         32
        .size:           4
        .value_kind:     by_value
      - .offset:         36
        .size:           4
        .value_kind:     by_value
      - .offset:         40
        .size:           4
        .value_kind:     by_value
      - .offset:         44
        .size:           4
        .value_kind:     by_value
      - .offset:         48
        .size:           4
        .value_kind:     by_value
      - .offset:         52
        .size:           4
        .value_kind:     by_value
      - .offset:         56
        .size:           4
        .value_kind:     by_value
      - .offset:         60
        .size:           4
        .value_kind:     by_value
      - .offset:         64
        .size:           4
        .value_kind:     hidden_block_count_x
      - .offset:         68
        .size:           4
        .value_kind:     hidden_block_count_y
      - .offset:         72
        .size:           4
        .value_kind:     hidden_block_count_z
      - .offset:         76
        .size:           2
        .value_kind:     hidden_group_size_x
      - .offset:         78
        .size:           2
        .value_kind:     hidden_group_size_y
      - .offset:         80
        .size:           2
        .value_kind:     hidden_group_size_z
      - .offset:         82
        .size:           2
        .value_kind:     hidden_remainder_x
      - .offset:         84
        .size:           2
        .value_kind:     hidden_remainder_y
      - .offset:         86
        .size:           2
        .value_kind:     hidden_remainder_z
      - .offset:         104
        .size:           8
        .value_kind:     hidden_global_offset_x
      - .offset:         112
        .size:           8
        .value_kind:     hidden_global_offset_y
      - .offset:         120
        .size:           8
        .value_kind:     hidden_global_offset_z
      - .offset:         128
        .size:           2
        .value_kind:     hidden_grid_dims
      - .offset:         184
        .size:           4
        .value_kind:     hidden_dynamic_lds_size
    .group_segment_fixed_size: 0
    .kernarg_segment_align: 8
    .kernarg_segment_size: 320
    .language:       OpenCL C
    .language_version:
      - 2
      - 0
    .max_flat_workgroup_size: 1024
    .name:           _ZN2at6native12_GLOBAL__N_131adaptive_average_gradinput_nhwcIiN3c104HalfEEEvPT0_PKS5_iiiiiiiiT_S9_S9_S9_
    .private_segment_fixed_size: 0
    .sgpr_count:     50
    .sgpr_spill_count: 0
    .symbol:         _ZN2at6native12_GLOBAL__N_131adaptive_average_gradinput_nhwcIiN3c104HalfEEEvPT0_PKS5_iiiiiiiiT_S9_S9_S9_.kd
    .uniform_work_group_size: 1
    .uses_dynamic_stack: false
    .vgpr_count:     46
    .vgpr_spill_count: 0
    .wavefront_size: 32
  - .args:
      - .actual_access:  write_only
        .address_space:  global
        .offset:         0
        .size:           8
        .value_kind:     global_buffer
      - .actual_access:  read_only
        .address_space:  global
        .offset:         8
        .size:           8
        .value_kind:     global_buffer
      - .offset:         16
        .size:           4
        .value_kind:     by_value
      - .offset:         20
        .size:           4
        .value_kind:     by_value
      - .offset:         24
        .size:           4
        .value_kind:     by_value
      - .offset:         28
        .size:           4
        .value_kind:     by_value
      - .offset:         32
        .size:           4
        .value_kind:     by_value
      - .offset:         36
        .size:           4
        .value_kind:     by_value
      - .offset:         40
        .size:           4
        .value_kind:     by_value
      - .offset:         44
        .size:           4
        .value_kind:     by_value
      - .offset:         48
        .size:           4
        .value_kind:     by_value
      - .offset:         52
        .size:           4
        .value_kind:     by_value
      - .offset:         56
        .size:           4
        .value_kind:     by_value
      - .offset:         60
        .size:           4
        .value_kind:     by_value
      - .offset:         64
        .size:           4
        .value_kind:     hidden_block_count_x
      - .offset:         68
        .size:           4
        .value_kind:     hidden_block_count_y
      - .offset:         72
        .size:           4
        .value_kind:     hidden_block_count_z
      - .offset:         76
        .size:           2
        .value_kind:     hidden_group_size_x
      - .offset:         78
        .size:           2
        .value_kind:     hidden_group_size_y
      - .offset:         80
        .size:           2
        .value_kind:     hidden_group_size_z
      - .offset:         82
        .size:           2
        .value_kind:     hidden_remainder_x
      - .offset:         84
        .size:           2
        .value_kind:     hidden_remainder_y
      - .offset:         86
        .size:           2
        .value_kind:     hidden_remainder_z
      - .offset:         104
        .size:           8
        .value_kind:     hidden_global_offset_x
      - .offset:         112
        .size:           8
        .value_kind:     hidden_global_offset_y
      - .offset:         120
        .size:           8
        .value_kind:     hidden_global_offset_z
      - .offset:         128
        .size:           2
        .value_kind:     hidden_grid_dims
      - .offset:         184
        .size:           4
        .value_kind:     hidden_dynamic_lds_size
    .group_segment_fixed_size: 0
    .kernarg_segment_align: 8
    .kernarg_segment_size: 320
    .language:       OpenCL C
    .language_version:
      - 2
      - 0
    .max_flat_workgroup_size: 1024
    .name:           _ZN2at6native12_GLOBAL__N_131adaptive_average_gradinput_nhwcIiN3c108BFloat16EEEvPT0_PKS5_iiiiiiiiT_S9_S9_S9_
    .private_segment_fixed_size: 0
    .sgpr_count:     53
    .sgpr_spill_count: 0
    .symbol:         _ZN2at6native12_GLOBAL__N_131adaptive_average_gradinput_nhwcIiN3c108BFloat16EEEvPT0_PKS5_iiiiiiiiT_S9_S9_S9_.kd
    .uniform_work_group_size: 1
    .uses_dynamic_stack: false
    .vgpr_count:     46
    .vgpr_spill_count: 0
    .wavefront_size: 32
  - .args:
      - .address_space:  global
        .offset:         0
        .size:           8
        .value_kind:     global_buffer
      - .address_space:  global
        .offset:         8
        .size:           8
        .value_kind:     global_buffer
      - .offset:         16
        .size:           4
        .value_kind:     by_value
      - .offset:         20
        .size:           4
        .value_kind:     by_value
      - .offset:         24
        .size:           4
        .value_kind:     by_value
      - .offset:         28
        .size:           4
        .value_kind:     by_value
      - .offset:         32
        .size:           4
        .value_kind:     hidden_block_count_x
      - .offset:         36
        .size:           4
        .value_kind:     hidden_block_count_y
      - .offset:         40
        .size:           4
        .value_kind:     hidden_block_count_z
      - .offset:         44
        .size:           2
        .value_kind:     hidden_group_size_x
      - .offset:         46
        .size:           2
        .value_kind:     hidden_group_size_y
      - .offset:         48
        .size:           2
        .value_kind:     hidden_group_size_z
      - .offset:         50
        .size:           2
        .value_kind:     hidden_remainder_x
      - .offset:         52
        .size:           2
        .value_kind:     hidden_remainder_y
      - .offset:         54
        .size:           2
        .value_kind:     hidden_remainder_z
      - .offset:         72
        .size:           8
        .value_kind:     hidden_global_offset_x
      - .offset:         80
        .size:           8
        .value_kind:     hidden_global_offset_y
      - .offset:         88
        .size:           8
        .value_kind:     hidden_global_offset_z
      - .offset:         96
        .size:           2
        .value_kind:     hidden_grid_dims
    .group_segment_fixed_size: 0
    .kernarg_segment_align: 8
    .kernarg_segment_size: 288
    .language:       OpenCL C
    .language_version:
      - 2
      - 0
    .max_flat_workgroup_size: 1024
    .name:           _ZN2at6native12_GLOBAL__N_133atomic_adaptive_average_gradinputIdEEvPT_PKS3_iiii
    .private_segment_fixed_size: 0
    .sgpr_count:     52
    .sgpr_spill_count: 0
    .symbol:         _ZN2at6native12_GLOBAL__N_133atomic_adaptive_average_gradinputIdEEvPT_PKS3_iiii.kd
    .uniform_work_group_size: 1
    .uses_dynamic_stack: false
    .vgpr_count:     30
    .vgpr_spill_count: 0
    .wavefront_size: 32
  - .args:
      - .address_space:  global
        .offset:         0
        .size:           8
        .value_kind:     global_buffer
      - .address_space:  global
        .offset:         8
        .size:           8
        .value_kind:     global_buffer
      - .offset:         16
        .size:           4
        .value_kind:     by_value
      - .offset:         20
        .size:           4
        .value_kind:     by_value
      - .offset:         24
        .size:           4
        .value_kind:     by_value
      - .offset:         28
        .size:           4
        .value_kind:     by_value
      - .offset:         32
        .size:           4
        .value_kind:     hidden_block_count_x
      - .offset:         36
        .size:           4
        .value_kind:     hidden_block_count_y
      - .offset:         40
        .size:           4
        .value_kind:     hidden_block_count_z
      - .offset:         44
        .size:           2
        .value_kind:     hidden_group_size_x
      - .offset:         46
        .size:           2
        .value_kind:     hidden_group_size_y
      - .offset:         48
        .size:           2
        .value_kind:     hidden_group_size_z
      - .offset:         50
        .size:           2
        .value_kind:     hidden_remainder_x
      - .offset:         52
        .size:           2
        .value_kind:     hidden_remainder_y
      - .offset:         54
        .size:           2
        .value_kind:     hidden_remainder_z
      - .offset:         72
        .size:           8
        .value_kind:     hidden_global_offset_x
      - .offset:         80
        .size:           8
        .value_kind:     hidden_global_offset_y
      - .offset:         88
        .size:           8
        .value_kind:     hidden_global_offset_z
      - .offset:         96
        .size:           2
        .value_kind:     hidden_grid_dims
    .group_segment_fixed_size: 0
    .kernarg_segment_align: 8
    .kernarg_segment_size: 288
    .language:       OpenCL C
    .language_version:
      - 2
      - 0
    .max_flat_workgroup_size: 1024
    .name:           _ZN2at6native12_GLOBAL__N_126adaptive_average_gradinputIdEEvPT_PKS3_iiii
    .private_segment_fixed_size: 0
    .sgpr_count:     64
    .sgpr_spill_count: 0
    .symbol:         _ZN2at6native12_GLOBAL__N_126adaptive_average_gradinputIdEEvPT_PKS3_iiii.kd
    .uniform_work_group_size: 1
    .uses_dynamic_stack: false
    .vgpr_count:     40
    .vgpr_spill_count: 0
    .wavefront_size: 32
  - .args:
      - .address_space:  global
        .offset:         0
        .size:           8
        .value_kind:     global_buffer
      - .address_space:  global
        .offset:         8
        .size:           8
        .value_kind:     global_buffer
      - .offset:         16
        .size:           4
        .value_kind:     by_value
      - .offset:         20
        .size:           4
        .value_kind:     by_value
      - .offset:         24
        .size:           4
        .value_kind:     by_value
      - .offset:         28
        .size:           4
        .value_kind:     by_value
      - .offset:         32
        .size:           4
        .value_kind:     hidden_block_count_x
      - .offset:         36
        .size:           4
        .value_kind:     hidden_block_count_y
      - .offset:         40
        .size:           4
        .value_kind:     hidden_block_count_z
      - .offset:         44
        .size:           2
        .value_kind:     hidden_group_size_x
      - .offset:         46
        .size:           2
        .value_kind:     hidden_group_size_y
      - .offset:         48
        .size:           2
        .value_kind:     hidden_group_size_z
      - .offset:         50
        .size:           2
        .value_kind:     hidden_remainder_x
      - .offset:         52
        .size:           2
        .value_kind:     hidden_remainder_y
      - .offset:         54
        .size:           2
        .value_kind:     hidden_remainder_z
      - .offset:         72
        .size:           8
        .value_kind:     hidden_global_offset_x
      - .offset:         80
        .size:           8
        .value_kind:     hidden_global_offset_y
      - .offset:         88
        .size:           8
        .value_kind:     hidden_global_offset_z
      - .offset:         96
        .size:           2
        .value_kind:     hidden_grid_dims
    .group_segment_fixed_size: 0
    .kernarg_segment_align: 8
    .kernarg_segment_size: 288
    .language:       OpenCL C
    .language_version:
      - 2
      - 0
    .max_flat_workgroup_size: 1024
    .name:           _ZN2at6native12_GLOBAL__N_133atomic_adaptive_average_gradinputIfEEvPT_PKS3_iiii
    .private_segment_fixed_size: 0
    .sgpr_count:     52
    .sgpr_spill_count: 0
    .symbol:         _ZN2at6native12_GLOBAL__N_133atomic_adaptive_average_gradinputIfEEvPT_PKS3_iiii.kd
    .uniform_work_group_size: 1
    .uses_dynamic_stack: false
    .vgpr_count:     26
    .vgpr_spill_count: 0
    .wavefront_size: 32
  - .args:
      - .address_space:  global
        .offset:         0
        .size:           8
        .value_kind:     global_buffer
      - .address_space:  global
        .offset:         8
        .size:           8
        .value_kind:     global_buffer
      - .offset:         16
        .size:           4
        .value_kind:     by_value
      - .offset:         20
        .size:           4
        .value_kind:     by_value
      - .offset:         24
        .size:           4
        .value_kind:     by_value
      - .offset:         28
        .size:           4
        .value_kind:     by_value
      - .offset:         32
        .size:           4
        .value_kind:     hidden_block_count_x
      - .offset:         36
        .size:           4
        .value_kind:     hidden_block_count_y
      - .offset:         40
        .size:           4
        .value_kind:     hidden_block_count_z
      - .offset:         44
        .size:           2
        .value_kind:     hidden_group_size_x
      - .offset:         46
        .size:           2
        .value_kind:     hidden_group_size_y
      - .offset:         48
        .size:           2
        .value_kind:     hidden_group_size_z
      - .offset:         50
        .size:           2
        .value_kind:     hidden_remainder_x
      - .offset:         52
        .size:           2
        .value_kind:     hidden_remainder_y
      - .offset:         54
        .size:           2
        .value_kind:     hidden_remainder_z
      - .offset:         72
        .size:           8
        .value_kind:     hidden_global_offset_x
      - .offset:         80
        .size:           8
        .value_kind:     hidden_global_offset_y
      - .offset:         88
        .size:           8
        .value_kind:     hidden_global_offset_z
      - .offset:         96
        .size:           2
        .value_kind:     hidden_grid_dims
    .group_segment_fixed_size: 0
    .kernarg_segment_align: 8
    .kernarg_segment_size: 288
    .language:       OpenCL C
    .language_version:
      - 2
      - 0
    .max_flat_workgroup_size: 1024
    .name:           _ZN2at6native12_GLOBAL__N_126adaptive_average_gradinputIfEEvPT_PKS3_iiii
    .private_segment_fixed_size: 0
    .sgpr_count:     64
    .sgpr_spill_count: 0
    .symbol:         _ZN2at6native12_GLOBAL__N_126adaptive_average_gradinputIfEEvPT_PKS3_iiii.kd
    .uniform_work_group_size: 1
    .uses_dynamic_stack: false
    .vgpr_count:     36
    .vgpr_spill_count: 0
    .wavefront_size: 32
  - .args:
      - .address_space:  global
        .offset:         0
        .size:           8
        .value_kind:     global_buffer
      - .address_space:  global
        .offset:         8
        .size:           8
        .value_kind:     global_buffer
      - .offset:         16
        .size:           4
        .value_kind:     by_value
      - .offset:         20
        .size:           4
        .value_kind:     by_value
      - .offset:         24
        .size:           4
        .value_kind:     by_value
      - .offset:         28
        .size:           4
        .value_kind:     by_value
      - .offset:         32
        .size:           4
        .value_kind:     hidden_block_count_x
      - .offset:         36
        .size:           4
        .value_kind:     hidden_block_count_y
      - .offset:         40
        .size:           4
        .value_kind:     hidden_block_count_z
      - .offset:         44
        .size:           2
        .value_kind:     hidden_group_size_x
      - .offset:         46
        .size:           2
        .value_kind:     hidden_group_size_y
      - .offset:         48
        .size:           2
        .value_kind:     hidden_group_size_z
      - .offset:         50
        .size:           2
        .value_kind:     hidden_remainder_x
      - .offset:         52
        .size:           2
        .value_kind:     hidden_remainder_y
      - .offset:         54
        .size:           2
        .value_kind:     hidden_remainder_z
      - .offset:         72
        .size:           8
        .value_kind:     hidden_global_offset_x
      - .offset:         80
        .size:           8
        .value_kind:     hidden_global_offset_y
      - .offset:         88
        .size:           8
        .value_kind:     hidden_global_offset_z
      - .offset:         96
        .size:           2
        .value_kind:     hidden_grid_dims
    .group_segment_fixed_size: 0
    .kernarg_segment_align: 8
    .kernarg_segment_size: 288
    .language:       OpenCL C
    .language_version:
      - 2
      - 0
    .max_flat_workgroup_size: 1024
    .name:           _ZN2at6native12_GLOBAL__N_133atomic_adaptive_average_gradinputIN3c104HalfEEEvPT_PKS5_iiii
    .private_segment_fixed_size: 0
    .sgpr_count:     50
    .sgpr_spill_count: 0
    .symbol:         _ZN2at6native12_GLOBAL__N_133atomic_adaptive_average_gradinputIN3c104HalfEEEvPT_PKS5_iiii.kd
    .uniform_work_group_size: 1
    .uses_dynamic_stack: false
    .vgpr_count:     26
    .vgpr_spill_count: 0
    .wavefront_size: 32
  - .args:
      - .address_space:  global
        .offset:         0
        .size:           8
        .value_kind:     global_buffer
      - .address_space:  global
        .offset:         8
        .size:           8
        .value_kind:     global_buffer
      - .offset:         16
        .size:           4
        .value_kind:     by_value
      - .offset:         20
        .size:           4
        .value_kind:     by_value
      - .offset:         24
        .size:           4
        .value_kind:     by_value
      - .offset:         28
        .size:           4
        .value_kind:     by_value
      - .offset:         32
        .size:           4
        .value_kind:     hidden_block_count_x
      - .offset:         36
        .size:           4
        .value_kind:     hidden_block_count_y
      - .offset:         40
        .size:           4
        .value_kind:     hidden_block_count_z
      - .offset:         44
        .size:           2
        .value_kind:     hidden_group_size_x
      - .offset:         46
        .size:           2
        .value_kind:     hidden_group_size_y
      - .offset:         48
        .size:           2
        .value_kind:     hidden_group_size_z
      - .offset:         50
        .size:           2
        .value_kind:     hidden_remainder_x
      - .offset:         52
        .size:           2
        .value_kind:     hidden_remainder_y
      - .offset:         54
        .size:           2
        .value_kind:     hidden_remainder_z
      - .offset:         72
        .size:           8
        .value_kind:     hidden_global_offset_x
      - .offset:         80
        .size:           8
        .value_kind:     hidden_global_offset_y
      - .offset:         88
        .size:           8
        .value_kind:     hidden_global_offset_z
      - .offset:         96
        .size:           2
        .value_kind:     hidden_grid_dims
    .group_segment_fixed_size: 0
    .kernarg_segment_align: 8
    .kernarg_segment_size: 288
    .language:       OpenCL C
    .language_version:
      - 2
      - 0
    .max_flat_workgroup_size: 1024
    .name:           _ZN2at6native12_GLOBAL__N_126adaptive_average_gradinputIN3c104HalfEEEvPT_PKS5_iiii
    .private_segment_fixed_size: 0
    .sgpr_count:     64
    .sgpr_spill_count: 0
    .symbol:         _ZN2at6native12_GLOBAL__N_126adaptive_average_gradinputIN3c104HalfEEEvPT_PKS5_iiii.kd
    .uniform_work_group_size: 1
    .uses_dynamic_stack: false
    .vgpr_count:     36
    .vgpr_spill_count: 0
    .wavefront_size: 32
  - .args:
      - .address_space:  global
        .offset:         0
        .size:           8
        .value_kind:     global_buffer
      - .address_space:  global
        .offset:         8
        .size:           8
        .value_kind:     global_buffer
      - .offset:         16
        .size:           4
        .value_kind:     by_value
      - .offset:         20
        .size:           4
        .value_kind:     by_value
      - .offset:         24
        .size:           4
        .value_kind:     by_value
      - .offset:         28
        .size:           4
        .value_kind:     by_value
      - .offset:         32
        .size:           4
        .value_kind:     hidden_block_count_x
      - .offset:         36
        .size:           4
        .value_kind:     hidden_block_count_y
      - .offset:         40
        .size:           4
        .value_kind:     hidden_block_count_z
      - .offset:         44
        .size:           2
        .value_kind:     hidden_group_size_x
      - .offset:         46
        .size:           2
        .value_kind:     hidden_group_size_y
      - .offset:         48
        .size:           2
        .value_kind:     hidden_group_size_z
      - .offset:         50
        .size:           2
        .value_kind:     hidden_remainder_x
      - .offset:         52
        .size:           2
        .value_kind:     hidden_remainder_y
      - .offset:         54
        .size:           2
        .value_kind:     hidden_remainder_z
      - .offset:         72
        .size:           8
        .value_kind:     hidden_global_offset_x
      - .offset:         80
        .size:           8
        .value_kind:     hidden_global_offset_y
      - .offset:         88
        .size:           8
        .value_kind:     hidden_global_offset_z
      - .offset:         96
        .size:           2
        .value_kind:     hidden_grid_dims
    .group_segment_fixed_size: 0
    .kernarg_segment_align: 8
    .kernarg_segment_size: 288
    .language:       OpenCL C
    .language_version:
      - 2
      - 0
    .max_flat_workgroup_size: 1024
    .name:           _ZN2at6native12_GLOBAL__N_133atomic_adaptive_average_gradinputIN3c108BFloat16EEEvPT_PKS5_iiii
    .private_segment_fixed_size: 0
    .sgpr_count:     50
    .sgpr_spill_count: 0
    .symbol:         _ZN2at6native12_GLOBAL__N_133atomic_adaptive_average_gradinputIN3c108BFloat16EEEvPT_PKS5_iiii.kd
    .uniform_work_group_size: 1
    .uses_dynamic_stack: false
    .vgpr_count:     26
    .vgpr_spill_count: 0
    .wavefront_size: 32
  - .args:
      - .address_space:  global
        .offset:         0
        .size:           8
        .value_kind:     global_buffer
      - .address_space:  global
        .offset:         8
        .size:           8
        .value_kind:     global_buffer
      - .offset:         16
        .size:           4
        .value_kind:     by_value
      - .offset:         20
        .size:           4
        .value_kind:     by_value
      - .offset:         24
        .size:           4
        .value_kind:     by_value
      - .offset:         28
        .size:           4
        .value_kind:     by_value
      - .offset:         32
        .size:           4
        .value_kind:     hidden_block_count_x
      - .offset:         36
        .size:           4
        .value_kind:     hidden_block_count_y
      - .offset:         40
        .size:           4
        .value_kind:     hidden_block_count_z
      - .offset:         44
        .size:           2
        .value_kind:     hidden_group_size_x
      - .offset:         46
        .size:           2
        .value_kind:     hidden_group_size_y
      - .offset:         48
        .size:           2
        .value_kind:     hidden_group_size_z
      - .offset:         50
        .size:           2
        .value_kind:     hidden_remainder_x
      - .offset:         52
        .size:           2
        .value_kind:     hidden_remainder_y
      - .offset:         54
        .size:           2
        .value_kind:     hidden_remainder_z
      - .offset:         72
        .size:           8
        .value_kind:     hidden_global_offset_x
      - .offset:         80
        .size:           8
        .value_kind:     hidden_global_offset_y
      - .offset:         88
        .size:           8
        .value_kind:     hidden_global_offset_z
      - .offset:         96
        .size:           2
        .value_kind:     hidden_grid_dims
    .group_segment_fixed_size: 0
    .kernarg_segment_align: 8
    .kernarg_segment_size: 288
    .language:       OpenCL C
    .language_version:
      - 2
      - 0
    .max_flat_workgroup_size: 1024
    .name:           _ZN2at6native12_GLOBAL__N_126adaptive_average_gradinputIN3c108BFloat16EEEvPT_PKS5_iiii
    .private_segment_fixed_size: 0
    .sgpr_count:     64
    .sgpr_spill_count: 0
    .symbol:         _ZN2at6native12_GLOBAL__N_126adaptive_average_gradinputIN3c108BFloat16EEEvPT_PKS5_iiii.kd
    .uniform_work_group_size: 1
    .uses_dynamic_stack: false
    .vgpr_count:     36
    .vgpr_spill_count: 0
    .wavefront_size: 32
amdhsa.target:   amdgcn-amd-amdhsa--gfx1250
amdhsa.version:
  - 1
  - 2
...

	.end_amdgpu_metadata
